;; amdgpu-corpus repo=ROCm/hipCUB kind=compiled arch=gfx1100 opt=O3
	.text
	.amdgcn_target "amdgcn-amd-amdhsa--gfx1100"
	.amdhsa_code_object_version 6
	.section	.text._Z6kernelI9histogramILN6hipcub23BlockHistogramAlgorithmE0EEiLj256ELj1ELj256ELj100EEvPKT0_PS4_,"axG",@progbits,_Z6kernelI9histogramILN6hipcub23BlockHistogramAlgorithmE0EEiLj256ELj1ELj256ELj100EEvPKT0_PS4_,comdat
	.protected	_Z6kernelI9histogramILN6hipcub23BlockHistogramAlgorithmE0EEiLj256ELj1ELj256ELj100EEvPKT0_PS4_ ; -- Begin function _Z6kernelI9histogramILN6hipcub23BlockHistogramAlgorithmE0EEiLj256ELj1ELj256ELj100EEvPKT0_PS4_
	.globl	_Z6kernelI9histogramILN6hipcub23BlockHistogramAlgorithmE0EEiLj256ELj1ELj256ELj100EEvPKT0_PS4_
	.p2align	8
	.type	_Z6kernelI9histogramILN6hipcub23BlockHistogramAlgorithmE0EEiLj256ELj1ELj256ELj100EEvPKT0_PS4_,@function
_Z6kernelI9histogramILN6hipcub23BlockHistogramAlgorithmE0EEiLj256ELj1ELj256ELj100EEvPKT0_PS4_: ; @_Z6kernelI9histogramILN6hipcub23BlockHistogramAlgorithmE0EEiLj256ELj1ELj256ELj100EEvPKT0_PS4_
; %bb.0:
	s_load_b128 s[0:3], s[0:1], 0x0
	s_lshl_b32 s4, s15, 8
	v_mov_b32_e32 v2, 0
	v_or_b32_e32 v1, s4, v0
	s_movk_i32 s4, 0x64
	s_delay_alu instid0(VALU_DEP_1) | instskip(SKIP_1) | instid1(VALU_DEP_1)
	v_lshlrev_b64 v[3:4], 2, v[1:2]
	s_waitcnt lgkmcnt(0)
	v_add_co_u32 v3, vcc_lo, s0, v3
	s_delay_alu instid0(VALU_DEP_2)
	v_add_co_ci_u32_e32 v4, vcc_lo, s1, v4, vcc_lo
	v_cmp_gt_u32_e32 vcc_lo, 0x100, v0
	v_lshlrev_b32_e32 v0, 2, v0
	global_load_b32 v3, v[3:4], off
	s_waitcnt vmcnt(0)
	v_lshlrev_b32_e32 v7, 29, v3
	v_and_b32_e32 v4, 1, v3
	v_lshlrev_b32_e32 v6, 30, v3
	v_lshlrev_b32_e32 v8, 28, v3
	v_lshlrev_b32_e32 v9, 27, v3
	v_not_b32_e32 v13, v7
	v_add_co_u32 v4, s0, v4, -1
	s_delay_alu instid0(VALU_DEP_1)
	v_cndmask_b32_e64 v5, 0, 1, s0
	v_cmp_gt_i32_e64 s0, 0, v6
	v_not_b32_e32 v12, v6
	v_lshlrev_b32_e32 v10, 26, v3
	v_not_b32_e32 v14, v8
	v_lshlrev_b32_e32 v11, 25, v3
	v_cndmask_b32_e64 v6, 0, 1, s0
	v_cmp_gt_i32_e64 s0, 0, v7
	v_not_b32_e32 v15, v9
	v_lshlrev_b32_e32 v19, 24, v3
	v_not_b32_e32 v16, v10
	v_not_b32_e32 v17, v11
	v_cndmask_b32_e64 v7, 0, 1, s0
	v_cmp_gt_i32_e64 s0, 0, v8
	v_not_b32_e32 v18, v19
	v_lshlrev_b32_e32 v3, 2, v3
	v_ashrrev_i32_e32 v12, 31, v12
	v_ashrrev_i32_e32 v13, 31, v13
	v_cndmask_b32_e64 v8, 0, 1, s0
	v_cmp_gt_i32_e64 s0, 0, v9
	v_ashrrev_i32_e32 v14, 31, v14
	v_ashrrev_i32_e32 v15, 31, v15
	v_ashrrev_i32_e32 v16, 31, v16
	v_ashrrev_i32_e32 v17, 31, v17
	v_cndmask_b32_e64 v9, 0, 1, s0
	v_cmp_gt_i32_e64 s0, 0, v10
	v_ashrrev_i32_e32 v18, 31, v18
	s_delay_alu instid0(VALU_DEP_2) | instskip(SKIP_1) | instid1(VALU_DEP_1)
	v_cndmask_b32_e64 v10, 0, 1, s0
	v_cmp_gt_i32_e64 s0, 0, v11
	v_cndmask_b32_e64 v11, 0, 1, s0
	v_cmp_gt_i32_e64 s0, 0, v19
	s_delay_alu instid0(VALU_DEP_1)
	v_cndmask_b32_e64 v19, 0, 1, s0
	s_branch .LBB0_2
.LBB0_1:                                ;   in Loop: Header=BB0_2 Depth=1
	s_or_b32 exec_lo, exec_lo, s1
	s_add_i32 s4, s4, -1
	s_waitcnt lgkmcnt(0)
	s_cmp_eq_u32 s4, 0
	s_barrier
	buffer_gl0_inv
	s_cbranch_scc1 .LBB0_6
.LBB0_2:                                ; =>This Inner Loop Header: Depth=1
	s_and_saveexec_b32 s0, vcc_lo
	s_cbranch_execz .LBB0_4
; %bb.3:                                ;   in Loop: Header=BB0_2 Depth=1
	ds_store_b32 v0, v2
.LBB0_4:                                ;   in Loop: Header=BB0_2 Depth=1
	s_or_b32 exec_lo, exec_lo, s0
	v_cmp_ne_u32_e64 s0, 0, v5
	v_cmp_ne_u32_e64 s1, 0, v6
	s_waitcnt lgkmcnt(0)
	s_barrier
	buffer_gl0_inv
	v_xor_b32_e32 v20, s0, v4
	v_cmp_ne_u32_e64 s0, 0, v7
	v_xor_b32_e32 v21, s1, v12
	v_cmp_ne_u32_e64 s1, 0, v8
	s_delay_alu instid0(VALU_DEP_4) | instskip(NEXT) | instid1(VALU_DEP_4)
	v_and_b32_e32 v20, exec_lo, v20
	v_xor_b32_e32 v22, s0, v13
	v_cmp_ne_u32_e64 s0, 0, v9
	s_delay_alu instid0(VALU_DEP_3) | instskip(SKIP_2) | instid1(VALU_DEP_3)
	v_and_b32_e32 v20, v20, v21
	v_xor_b32_e32 v21, s1, v14
	v_cmp_ne_u32_e64 s1, 0, v10
	v_and_b32_e32 v20, v20, v22
	v_xor_b32_e32 v22, s0, v15
	v_cmp_ne_u32_e64 s0, 0, v11
	s_delay_alu instid0(VALU_DEP_3) | instskip(SKIP_2) | instid1(VALU_DEP_2)
	v_and_b32_e32 v20, v20, v21
	v_xor_b32_e32 v21, s1, v16
	s_mov_b32 s1, exec_lo
	v_and_b32_e32 v20, v20, v22
	v_xor_b32_e32 v22, s0, v17
	v_cmp_ne_u32_e64 s0, 0, v19
	s_delay_alu instid0(VALU_DEP_3) | instskip(NEXT) | instid1(VALU_DEP_2)
	v_and_b32_e32 v20, v20, v21
	v_xor_b32_e32 v21, s0, v18
	s_delay_alu instid0(VALU_DEP_2) | instskip(NEXT) | instid1(VALU_DEP_1)
	v_and_b32_e32 v20, v20, v22
	v_and_b32_e32 v20, v20, v21
	s_delay_alu instid0(VALU_DEP_1) | instskip(NEXT) | instid1(VALU_DEP_1)
	v_mbcnt_lo_u32_b32 v21, v20, 0
	v_cmpx_eq_u32_e32 0, v21
	s_cbranch_execz .LBB0_1
; %bb.5:                                ;   in Loop: Header=BB0_2 Depth=1
	v_bcnt_u32_b32 v20, v20, 0
	ds_add_u32 v3, v20
	s_branch .LBB0_1
.LBB0_6:
	s_and_saveexec_b32 s0, vcc_lo
	s_cbranch_execz .LBB0_8
; %bb.7:
	ds_load_b32 v3, v0
	v_mov_b32_e32 v2, 0
	s_delay_alu instid0(VALU_DEP_1) | instskip(NEXT) | instid1(VALU_DEP_1)
	v_lshlrev_b64 v[0:1], 2, v[1:2]
	v_add_co_u32 v0, vcc_lo, s2, v0
	s_delay_alu instid0(VALU_DEP_2)
	v_add_co_ci_u32_e32 v1, vcc_lo, s3, v1, vcc_lo
	s_waitcnt lgkmcnt(0)
	global_store_b32 v[0:1], v3, off
.LBB0_8:
	s_nop 0
	s_sendmsg sendmsg(MSG_DEALLOC_VGPRS)
	s_endpgm
	.section	.rodata,"a",@progbits
	.p2align	6, 0x0
	.amdhsa_kernel _Z6kernelI9histogramILN6hipcub23BlockHistogramAlgorithmE0EEiLj256ELj1ELj256ELj100EEvPKT0_PS4_
		.amdhsa_group_segment_fixed_size 1024
		.amdhsa_private_segment_fixed_size 0
		.amdhsa_kernarg_size 16
		.amdhsa_user_sgpr_count 15
		.amdhsa_user_sgpr_dispatch_ptr 0
		.amdhsa_user_sgpr_queue_ptr 0
		.amdhsa_user_sgpr_kernarg_segment_ptr 1
		.amdhsa_user_sgpr_dispatch_id 0
		.amdhsa_user_sgpr_private_segment_size 0
		.amdhsa_wavefront_size32 1
		.amdhsa_uses_dynamic_stack 0
		.amdhsa_enable_private_segment 0
		.amdhsa_system_sgpr_workgroup_id_x 1
		.amdhsa_system_sgpr_workgroup_id_y 0
		.amdhsa_system_sgpr_workgroup_id_z 0
		.amdhsa_system_sgpr_workgroup_info 0
		.amdhsa_system_vgpr_workitem_id 0
		.amdhsa_next_free_vgpr 23
		.amdhsa_next_free_sgpr 16
		.amdhsa_reserve_vcc 1
		.amdhsa_float_round_mode_32 0
		.amdhsa_float_round_mode_16_64 0
		.amdhsa_float_denorm_mode_32 3
		.amdhsa_float_denorm_mode_16_64 3
		.amdhsa_dx10_clamp 1
		.amdhsa_ieee_mode 1
		.amdhsa_fp16_overflow 0
		.amdhsa_workgroup_processor_mode 1
		.amdhsa_memory_ordered 1
		.amdhsa_forward_progress 0
		.amdhsa_shared_vgpr_count 0
		.amdhsa_exception_fp_ieee_invalid_op 0
		.amdhsa_exception_fp_denorm_src 0
		.amdhsa_exception_fp_ieee_div_zero 0
		.amdhsa_exception_fp_ieee_overflow 0
		.amdhsa_exception_fp_ieee_underflow 0
		.amdhsa_exception_fp_ieee_inexact 0
		.amdhsa_exception_int_div_zero 0
	.end_amdhsa_kernel
	.section	.text._Z6kernelI9histogramILN6hipcub23BlockHistogramAlgorithmE0EEiLj256ELj1ELj256ELj100EEvPKT0_PS4_,"axG",@progbits,_Z6kernelI9histogramILN6hipcub23BlockHistogramAlgorithmE0EEiLj256ELj1ELj256ELj100EEvPKT0_PS4_,comdat
.Lfunc_end0:
	.size	_Z6kernelI9histogramILN6hipcub23BlockHistogramAlgorithmE0EEiLj256ELj1ELj256ELj100EEvPKT0_PS4_, .Lfunc_end0-_Z6kernelI9histogramILN6hipcub23BlockHistogramAlgorithmE0EEiLj256ELj1ELj256ELj100EEvPKT0_PS4_
                                        ; -- End function
	.section	.AMDGPU.csdata,"",@progbits
; Kernel info:
; codeLenInByte = 648
; NumSgprs: 18
; NumVgprs: 23
; ScratchSize: 0
; MemoryBound: 0
; FloatMode: 240
; IeeeMode: 1
; LDSByteSize: 1024 bytes/workgroup (compile time only)
; SGPRBlocks: 2
; VGPRBlocks: 2
; NumSGPRsForWavesPerEU: 18
; NumVGPRsForWavesPerEU: 23
; Occupancy: 16
; WaveLimiterHint : 0
; COMPUTE_PGM_RSRC2:SCRATCH_EN: 0
; COMPUTE_PGM_RSRC2:USER_SGPR: 15
; COMPUTE_PGM_RSRC2:TRAP_HANDLER: 0
; COMPUTE_PGM_RSRC2:TGID_X_EN: 1
; COMPUTE_PGM_RSRC2:TGID_Y_EN: 0
; COMPUTE_PGM_RSRC2:TGID_Z_EN: 0
; COMPUTE_PGM_RSRC2:TIDIG_COMP_CNT: 0
	.section	.text._Z6kernelI9histogramILN6hipcub23BlockHistogramAlgorithmE0EEiLj256ELj2ELj256ELj100EEvPKT0_PS4_,"axG",@progbits,_Z6kernelI9histogramILN6hipcub23BlockHistogramAlgorithmE0EEiLj256ELj2ELj256ELj100EEvPKT0_PS4_,comdat
	.protected	_Z6kernelI9histogramILN6hipcub23BlockHistogramAlgorithmE0EEiLj256ELj2ELj256ELj100EEvPKT0_PS4_ ; -- Begin function _Z6kernelI9histogramILN6hipcub23BlockHistogramAlgorithmE0EEiLj256ELj2ELj256ELj100EEvPKT0_PS4_
	.globl	_Z6kernelI9histogramILN6hipcub23BlockHistogramAlgorithmE0EEiLj256ELj2ELj256ELj100EEvPKT0_PS4_
	.p2align	8
	.type	_Z6kernelI9histogramILN6hipcub23BlockHistogramAlgorithmE0EEiLj256ELj2ELj256ELj100EEvPKT0_PS4_,@function
_Z6kernelI9histogramILN6hipcub23BlockHistogramAlgorithmE0EEiLj256ELj2ELj256ELj100EEvPKT0_PS4_: ; @_Z6kernelI9histogramILN6hipcub23BlockHistogramAlgorithmE0EEiLj256ELj2ELj256ELj100EEvPKT0_PS4_
; %bb.0:
	s_load_b128 s[0:3], s[0:1], 0x0
	v_dual_mov_b32 v2, 0 :: v_dual_lshlrev_b32 v1, 1, v0
	s_movk_i32 s4, 0x64
	s_delay_alu instid0(VALU_DEP_1) | instskip(NEXT) | instid1(VALU_DEP_1)
	v_lshl_or_b32 v1, s15, 9, v1
	v_lshlrev_b64 v[3:4], 2, v[1:2]
	v_lshlrev_b32_e32 v1, 2, v0
	s_waitcnt lgkmcnt(0)
	s_delay_alu instid0(VALU_DEP_2) | instskip(NEXT) | instid1(VALU_DEP_3)
	v_add_co_u32 v3, vcc_lo, s0, v3
	v_add_co_ci_u32_e32 v4, vcc_lo, s1, v4, vcc_lo
	v_cmp_gt_u32_e32 vcc_lo, 0x100, v0
	global_load_b64 v[3:4], v[3:4], off
	s_waitcnt vmcnt(0)
	v_and_b32_e32 v5, 1, v3
	v_lshlrev_b32_e32 v7, 30, v3
	v_lshlrev_b32_e32 v8, 29, v3
	;; [unrolled: 1-line block ×4, first 2 shown]
	v_add_co_u32 v5, s0, v5, -1
	s_delay_alu instid0(VALU_DEP_1)
	v_cndmask_b32_e64 v6, 0, 1, s0
	v_cmp_gt_i32_e64 s0, 0, v7
	v_not_b32_e32 v22, v7
	v_not_b32_e32 v23, v8
	v_lshlrev_b32_e32 v11, 26, v3
	v_not_b32_e32 v24, v9
	v_cndmask_b32_e64 v7, 0, 1, s0
	v_cmp_gt_i32_e64 s0, 0, v8
	v_lshlrev_b32_e32 v12, 25, v3
	v_not_b32_e32 v25, v10
	v_lshlrev_b32_e32 v13, 24, v3
	v_not_b32_e32 v26, v11
	v_cndmask_b32_e64 v8, 0, 1, s0
	v_cmp_gt_i32_e64 s0, 0, v9
	v_and_b32_e32 v14, 1, v4
	v_not_b32_e32 v27, v12
	v_lshlrev_b32_e32 v16, 30, v4
	v_not_b32_e32 v28, v13
	v_cndmask_b32_e64 v9, 0, 1, s0
	v_cmp_gt_i32_e64 s0, 0, v10
	v_lshlrev_b32_e32 v17, 29, v4
	v_lshlrev_b32_e32 v18, 28, v4
	v_not_b32_e32 v29, v16
	v_lshlrev_b32_e32 v19, 27, v4
	v_cndmask_b32_e64 v10, 0, 1, s0
	v_cmp_gt_i32_e64 s0, 0, v11
	v_not_b32_e32 v30, v17
	v_lshlrev_b32_e32 v20, 26, v4
	v_not_b32_e32 v31, v18
	v_lshlrev_b32_e32 v21, 25, v4
	v_cndmask_b32_e64 v11, 0, 1, s0
	v_cmp_gt_i32_e64 s0, 0, v12
	v_not_b32_e32 v32, v19
	v_lshlrev_b32_e32 v36, 24, v4
	v_not_b32_e32 v33, v20
	v_not_b32_e32 v34, v21
	v_cndmask_b32_e64 v12, 0, 1, s0
	v_cmp_gt_i32_e64 s0, 0, v13
	v_not_b32_e32 v35, v36
	v_lshlrev_b32_e32 v3, 2, v3
	v_lshlrev_b32_e32 v4, 2, v4
	v_ashrrev_i32_e32 v22, 31, v22
	v_cndmask_b32_e64 v13, 0, 1, s0
	v_add_co_u32 v14, s0, v14, -1
	s_delay_alu instid0(VALU_DEP_1)
	v_cndmask_b32_e64 v15, 0, 1, s0
	v_cmp_gt_i32_e64 s0, 0, v16
	v_ashrrev_i32_e32 v23, 31, v23
	v_ashrrev_i32_e32 v24, 31, v24
	v_ashrrev_i32_e32 v25, 31, v25
	v_ashrrev_i32_e32 v26, 31, v26
	v_cndmask_b32_e64 v16, 0, 1, s0
	v_cmp_gt_i32_e64 s0, 0, v17
	v_ashrrev_i32_e32 v27, 31, v27
	v_ashrrev_i32_e32 v28, 31, v28
	v_ashrrev_i32_e32 v29, 31, v29
	v_ashrrev_i32_e32 v30, 31, v30
	;; [unrolled: 6-line block ×3, first 2 shown]
	v_cndmask_b32_e64 v18, 0, 1, s0
	v_cmp_gt_i32_e64 s0, 0, v19
	v_ashrrev_i32_e32 v35, 31, v35
	s_delay_alu instid0(VALU_DEP_2) | instskip(SKIP_1) | instid1(VALU_DEP_1)
	v_cndmask_b32_e64 v19, 0, 1, s0
	v_cmp_gt_i32_e64 s0, 0, v20
	v_cndmask_b32_e64 v20, 0, 1, s0
	v_cmp_gt_i32_e64 s0, 0, v21
	s_delay_alu instid0(VALU_DEP_1) | instskip(SKIP_1) | instid1(VALU_DEP_1)
	v_cndmask_b32_e64 v21, 0, 1, s0
	v_cmp_gt_i32_e64 s0, 0, v36
	v_cndmask_b32_e64 v36, 0, 1, s0
	s_branch .LBB1_2
.LBB1_1:                                ;   in Loop: Header=BB1_2 Depth=1
	s_or_b32 exec_lo, exec_lo, s1
	s_add_i32 s4, s4, -1
	s_waitcnt lgkmcnt(0)
	s_cmp_eq_u32 s4, 0
	s_barrier
	buffer_gl0_inv
	s_cbranch_scc1 .LBB1_8
.LBB1_2:                                ; =>This Inner Loop Header: Depth=1
	s_and_saveexec_b32 s0, vcc_lo
	s_cbranch_execz .LBB1_4
; %bb.3:                                ;   in Loop: Header=BB1_2 Depth=1
	ds_store_b32 v1, v2
.LBB1_4:                                ;   in Loop: Header=BB1_2 Depth=1
	s_or_b32 exec_lo, exec_lo, s0
	v_cmp_ne_u32_e64 s0, 0, v6
	v_cmp_ne_u32_e64 s1, 0, v7
	s_waitcnt lgkmcnt(0)
	s_barrier
	buffer_gl0_inv
	v_xor_b32_e32 v37, s0, v5
	v_cmp_ne_u32_e64 s0, 0, v8
	v_xor_b32_e32 v38, s1, v22
	v_cmp_ne_u32_e64 s1, 0, v9
	s_delay_alu instid0(VALU_DEP_4) | instskip(NEXT) | instid1(VALU_DEP_4)
	v_and_b32_e32 v37, exec_lo, v37
	v_xor_b32_e32 v39, s0, v23
	v_cmp_ne_u32_e64 s0, 0, v10
	s_delay_alu instid0(VALU_DEP_3) | instskip(SKIP_2) | instid1(VALU_DEP_3)
	v_and_b32_e32 v37, v37, v38
	v_xor_b32_e32 v38, s1, v24
	v_cmp_ne_u32_e64 s1, 0, v11
	v_and_b32_e32 v37, v37, v39
	v_xor_b32_e32 v39, s0, v25
	v_cmp_ne_u32_e64 s0, 0, v12
	s_delay_alu instid0(VALU_DEP_3) | instskip(SKIP_2) | instid1(VALU_DEP_2)
	v_and_b32_e32 v37, v37, v38
	v_xor_b32_e32 v38, s1, v26
	s_mov_b32 s1, exec_lo
	v_and_b32_e32 v37, v37, v39
	v_xor_b32_e32 v39, s0, v27
	v_cmp_ne_u32_e64 s0, 0, v13
	s_delay_alu instid0(VALU_DEP_3) | instskip(NEXT) | instid1(VALU_DEP_2)
	v_and_b32_e32 v37, v37, v38
	v_xor_b32_e32 v38, s0, v28
	s_delay_alu instid0(VALU_DEP_2) | instskip(NEXT) | instid1(VALU_DEP_1)
	v_and_b32_e32 v37, v37, v39
	v_and_b32_e32 v37, v37, v38
	s_delay_alu instid0(VALU_DEP_1) | instskip(NEXT) | instid1(VALU_DEP_1)
	v_mbcnt_lo_u32_b32 v38, v37, 0
	v_cmpx_eq_u32_e32 0, v38
	s_cbranch_execz .LBB1_6
; %bb.5:                                ;   in Loop: Header=BB1_2 Depth=1
	v_bcnt_u32_b32 v37, v37, 0
	ds_add_u32 v3, v37
.LBB1_6:                                ;   in Loop: Header=BB1_2 Depth=1
	s_or_b32 exec_lo, exec_lo, s1
	v_cmp_ne_u32_e64 s0, 0, v15
	v_cmp_ne_u32_e64 s1, 0, v16
	s_delay_alu instid0(VALU_DEP_2) | instskip(SKIP_1) | instid1(VALU_DEP_3)
	v_xor_b32_e32 v37, s0, v14
	v_cmp_ne_u32_e64 s0, 0, v17
	v_xor_b32_e32 v38, s1, v29
	v_cmp_ne_u32_e64 s1, 0, v18
	s_delay_alu instid0(VALU_DEP_4) | instskip(NEXT) | instid1(VALU_DEP_4)
	v_and_b32_e32 v37, exec_lo, v37
	v_xor_b32_e32 v39, s0, v30
	v_cmp_ne_u32_e64 s0, 0, v19
	s_delay_alu instid0(VALU_DEP_3) | instskip(SKIP_2) | instid1(VALU_DEP_3)
	v_and_b32_e32 v37, v37, v38
	v_xor_b32_e32 v38, s1, v31
	v_cmp_ne_u32_e64 s1, 0, v20
	v_and_b32_e32 v37, v37, v39
	v_xor_b32_e32 v39, s0, v32
	v_cmp_ne_u32_e64 s0, 0, v21
	s_delay_alu instid0(VALU_DEP_3) | instskip(SKIP_2) | instid1(VALU_DEP_2)
	v_and_b32_e32 v37, v37, v38
	v_xor_b32_e32 v38, s1, v33
	s_mov_b32 s1, exec_lo
	v_and_b32_e32 v37, v37, v39
	v_xor_b32_e32 v39, s0, v34
	v_cmp_ne_u32_e64 s0, 0, v36
	s_delay_alu instid0(VALU_DEP_3) | instskip(NEXT) | instid1(VALU_DEP_2)
	v_and_b32_e32 v37, v37, v38
	v_xor_b32_e32 v38, s0, v35
	s_delay_alu instid0(VALU_DEP_2) | instskip(NEXT) | instid1(VALU_DEP_1)
	v_and_b32_e32 v37, v37, v39
	v_and_b32_e32 v37, v37, v38
	s_delay_alu instid0(VALU_DEP_1) | instskip(NEXT) | instid1(VALU_DEP_1)
	v_mbcnt_lo_u32_b32 v38, v37, 0
	v_cmpx_eq_u32_e32 0, v38
	s_cbranch_execz .LBB1_1
; %bb.7:                                ;   in Loop: Header=BB1_2 Depth=1
	v_bcnt_u32_b32 v37, v37, 0
	ds_add_u32 v4, v37
	s_branch .LBB1_1
.LBB1_8:
	s_and_saveexec_b32 s0, vcc_lo
	s_cbranch_execz .LBB1_10
; %bb.9:
	ds_load_b32 v2, v1
	v_lshl_or_b32 v0, s15, 8, v0
	v_mov_b32_e32 v1, 0
	s_delay_alu instid0(VALU_DEP_1) | instskip(NEXT) | instid1(VALU_DEP_1)
	v_lshlrev_b64 v[0:1], 2, v[0:1]
	v_add_co_u32 v0, vcc_lo, s2, v0
	s_delay_alu instid0(VALU_DEP_2)
	v_add_co_ci_u32_e32 v1, vcc_lo, s3, v1, vcc_lo
	s_waitcnt lgkmcnt(0)
	global_store_b32 v[0:1], v2, off
.LBB1_10:
	s_nop 0
	s_sendmsg sendmsg(MSG_DEALLOC_VGPRS)
	s_endpgm
	.section	.rodata,"a",@progbits
	.p2align	6, 0x0
	.amdhsa_kernel _Z6kernelI9histogramILN6hipcub23BlockHistogramAlgorithmE0EEiLj256ELj2ELj256ELj100EEvPKT0_PS4_
		.amdhsa_group_segment_fixed_size 1024
		.amdhsa_private_segment_fixed_size 0
		.amdhsa_kernarg_size 16
		.amdhsa_user_sgpr_count 15
		.amdhsa_user_sgpr_dispatch_ptr 0
		.amdhsa_user_sgpr_queue_ptr 0
		.amdhsa_user_sgpr_kernarg_segment_ptr 1
		.amdhsa_user_sgpr_dispatch_id 0
		.amdhsa_user_sgpr_private_segment_size 0
		.amdhsa_wavefront_size32 1
		.amdhsa_uses_dynamic_stack 0
		.amdhsa_enable_private_segment 0
		.amdhsa_system_sgpr_workgroup_id_x 1
		.amdhsa_system_sgpr_workgroup_id_y 0
		.amdhsa_system_sgpr_workgroup_id_z 0
		.amdhsa_system_sgpr_workgroup_info 0
		.amdhsa_system_vgpr_workitem_id 0
		.amdhsa_next_free_vgpr 40
		.amdhsa_next_free_sgpr 16
		.amdhsa_reserve_vcc 1
		.amdhsa_float_round_mode_32 0
		.amdhsa_float_round_mode_16_64 0
		.amdhsa_float_denorm_mode_32 3
		.amdhsa_float_denorm_mode_16_64 3
		.amdhsa_dx10_clamp 1
		.amdhsa_ieee_mode 1
		.amdhsa_fp16_overflow 0
		.amdhsa_workgroup_processor_mode 1
		.amdhsa_memory_ordered 1
		.amdhsa_forward_progress 0
		.amdhsa_shared_vgpr_count 0
		.amdhsa_exception_fp_ieee_invalid_op 0
		.amdhsa_exception_fp_denorm_src 0
		.amdhsa_exception_fp_ieee_div_zero 0
		.amdhsa_exception_fp_ieee_overflow 0
		.amdhsa_exception_fp_ieee_underflow 0
		.amdhsa_exception_fp_ieee_inexact 0
		.amdhsa_exception_int_div_zero 0
	.end_amdhsa_kernel
	.section	.text._Z6kernelI9histogramILN6hipcub23BlockHistogramAlgorithmE0EEiLj256ELj2ELj256ELj100EEvPKT0_PS4_,"axG",@progbits,_Z6kernelI9histogramILN6hipcub23BlockHistogramAlgorithmE0EEiLj256ELj2ELj256ELj100EEvPKT0_PS4_,comdat
.Lfunc_end1:
	.size	_Z6kernelI9histogramILN6hipcub23BlockHistogramAlgorithmE0EEiLj256ELj2ELj256ELj100EEvPKT0_PS4_, .Lfunc_end1-_Z6kernelI9histogramILN6hipcub23BlockHistogramAlgorithmE0EEiLj256ELj2ELj256ELj100EEvPKT0_PS4_
                                        ; -- End function
	.section	.AMDGPU.csdata,"",@progbits
; Kernel info:
; codeLenInByte = 1080
; NumSgprs: 18
; NumVgprs: 40
; ScratchSize: 0
; MemoryBound: 0
; FloatMode: 240
; IeeeMode: 1
; LDSByteSize: 1024 bytes/workgroup (compile time only)
; SGPRBlocks: 2
; VGPRBlocks: 4
; NumSGPRsForWavesPerEU: 18
; NumVGPRsForWavesPerEU: 40
; Occupancy: 16
; WaveLimiterHint : 0
; COMPUTE_PGM_RSRC2:SCRATCH_EN: 0
; COMPUTE_PGM_RSRC2:USER_SGPR: 15
; COMPUTE_PGM_RSRC2:TRAP_HANDLER: 0
; COMPUTE_PGM_RSRC2:TGID_X_EN: 1
; COMPUTE_PGM_RSRC2:TGID_Y_EN: 0
; COMPUTE_PGM_RSRC2:TGID_Z_EN: 0
; COMPUTE_PGM_RSRC2:TIDIG_COMP_CNT: 0
	.section	.text._Z6kernelI9histogramILN6hipcub23BlockHistogramAlgorithmE0EEiLj256ELj3ELj256ELj100EEvPKT0_PS4_,"axG",@progbits,_Z6kernelI9histogramILN6hipcub23BlockHistogramAlgorithmE0EEiLj256ELj3ELj256ELj100EEvPKT0_PS4_,comdat
	.protected	_Z6kernelI9histogramILN6hipcub23BlockHistogramAlgorithmE0EEiLj256ELj3ELj256ELj100EEvPKT0_PS4_ ; -- Begin function _Z6kernelI9histogramILN6hipcub23BlockHistogramAlgorithmE0EEiLj256ELj3ELj256ELj100EEvPKT0_PS4_
	.globl	_Z6kernelI9histogramILN6hipcub23BlockHistogramAlgorithmE0EEiLj256ELj3ELj256ELj100EEvPKT0_PS4_
	.p2align	8
	.type	_Z6kernelI9histogramILN6hipcub23BlockHistogramAlgorithmE0EEiLj256ELj3ELj256ELj100EEvPKT0_PS4_,@function
_Z6kernelI9histogramILN6hipcub23BlockHistogramAlgorithmE0EEiLj256ELj3ELj256ELj100EEvPKT0_PS4_: ; @_Z6kernelI9histogramILN6hipcub23BlockHistogramAlgorithmE0EEiLj256ELj3ELj256ELj100EEvPKT0_PS4_
; %bb.0:
	s_load_b128 s[0:3], s[0:1], 0x0
	s_lshl_b32 s4, s15, 8
	s_delay_alu instid0(SALU_CYCLE_1) | instskip(SKIP_1) | instid1(VALU_DEP_1)
	v_or_b32_e32 v1, s4, v0
	s_movk_i32 s4, 0x64
	v_lshl_add_u32 v2, v1, 1, v1
	s_delay_alu instid0(VALU_DEP_1) | instskip(NEXT) | instid1(VALU_DEP_1)
	v_dual_mov_b32 v3, 0 :: v_dual_add_nc_u32 v6, 1, v2
	v_lshlrev_b64 v[4:5], 2, v[2:3]
	v_dual_mov_b32 v7, v3 :: v_dual_add_nc_u32 v2, 2, v2
	s_delay_alu instid0(VALU_DEP_1) | instskip(SKIP_1) | instid1(VALU_DEP_3)
	v_lshlrev_b64 v[6:7], 2, v[6:7]
	s_waitcnt lgkmcnt(0)
	v_add_co_u32 v4, vcc_lo, s0, v4
	s_delay_alu instid0(VALU_DEP_4)
	v_add_co_ci_u32_e32 v5, vcc_lo, s1, v5, vcc_lo
	global_load_b32 v8, v[4:5], off
	v_add_co_u32 v4, vcc_lo, s0, v6
	v_add_co_ci_u32_e32 v5, vcc_lo, s1, v7, vcc_lo
	v_lshlrev_b64 v[6:7], 2, v[2:3]
	global_load_b32 v9, v[4:5], off
	v_add_co_u32 v4, vcc_lo, s0, v6
	v_add_co_ci_u32_e32 v5, vcc_lo, s1, v7, vcc_lo
	v_cmp_gt_u32_e32 vcc_lo, 0x100, v0
	v_lshlrev_b32_e32 v0, 2, v0
	global_load_b32 v5, v[4:5], off
	s_waitcnt vmcnt(2)
	v_and_b32_e32 v6, 1, v8
	v_lshlrev_b32_e32 v10, 30, v8
	v_lshlrev_b32_e32 v11, 29, v8
	;; [unrolled: 1-line block ×4, first 2 shown]
	v_add_co_u32 v6, s0, v6, -1
	s_delay_alu instid0(VALU_DEP_1)
	v_cndmask_b32_e64 v7, 0, 1, s0
	v_cmp_gt_i32_e64 s0, 0, v10
	v_lshlrev_b32_e32 v14, 26, v8
	v_lshlrev_b32_e32 v15, 25, v8
	;; [unrolled: 1-line block ×4, first 2 shown]
	v_cndmask_b32_e64 v8, 0, 1, s0
	v_cmp_gt_i32_e64 s0, 0, v11
	s_waitcnt vmcnt(1)
	v_and_b32_e32 v17, 1, v9
	v_lshlrev_b32_e32 v18, 30, v9
	v_lshlrev_b32_e32 v19, 29, v9
	;; [unrolled: 1-line block ×8, first 2 shown]
	v_cndmask_b32_e64 v9, 0, 1, s0
	v_cmp_gt_i32_e64 s0, 0, v12
	v_not_b32_e32 v32, v10
	v_not_b32_e32 v33, v11
	;; [unrolled: 1-line block ×4, first 2 shown]
	v_cndmask_b32_e64 v10, 0, 1, s0
	v_cmp_gt_i32_e64 s0, 0, v13
	v_not_b32_e32 v36, v14
	v_not_b32_e32 v37, v15
	;; [unrolled: 1-line block ×4, first 2 shown]
	v_cndmask_b32_e64 v11, 0, 1, s0
	v_cmp_gt_i32_e64 s0, 0, v14
	v_not_b32_e32 v40, v19
	v_not_b32_e32 v41, v20
	v_not_b32_e32 v42, v21
	s_waitcnt vmcnt(0)
	v_and_b32_e32 v25, 1, v5
	v_cndmask_b32_e64 v12, 0, 1, s0
	v_cmp_gt_i32_e64 s0, 0, v15
	v_not_b32_e32 v43, v22
	v_lshlrev_b32_e32 v26, 30, v5
	v_not_b32_e32 v44, v23
	v_not_b32_e32 v45, v24
	v_cndmask_b32_e64 v13, 0, 1, s0
	v_cmp_gt_i32_e64 s0, 0, v16
	v_lshlrev_b32_e32 v27, 29, v5
	v_lshlrev_b32_e32 v28, 28, v5
	v_not_b32_e32 v46, v26
	v_lshlrev_b32_e32 v29, 27, v5
	v_cndmask_b32_e64 v14, 0, 1, s0
	v_add_co_u32 v15, s0, v17, -1
	s_delay_alu instid0(VALU_DEP_1)
	v_cndmask_b32_e64 v16, 0, 1, s0
	v_cmp_gt_i32_e64 s0, 0, v18
	v_not_b32_e32 v47, v27
	v_lshlrev_b32_e32 v30, 26, v5
	v_not_b32_e32 v48, v28
	v_lshlrev_b32_e32 v31, 25, v5
	v_cndmask_b32_e64 v17, 0, 1, s0
	v_cmp_gt_i32_e64 s0, 0, v19
	v_not_b32_e32 v49, v29
	v_lshlrev_b32_e32 v53, 24, v5
	v_not_b32_e32 v50, v30
	v_not_b32_e32 v51, v31
	v_cndmask_b32_e64 v18, 0, 1, s0
	v_cmp_gt_i32_e64 s0, 0, v20
	v_not_b32_e32 v52, v53
	v_lshlrev_b32_e32 v5, 2, v5
	v_ashrrev_i32_e32 v32, 31, v32
	v_ashrrev_i32_e32 v33, 31, v33
	v_cndmask_b32_e64 v19, 0, 1, s0
	v_cmp_gt_i32_e64 s0, 0, v21
	v_ashrrev_i32_e32 v34, 31, v34
	v_ashrrev_i32_e32 v35, 31, v35
	v_ashrrev_i32_e32 v36, 31, v36
	v_ashrrev_i32_e32 v37, 31, v37
	v_cndmask_b32_e64 v20, 0, 1, s0
	v_cmp_gt_i32_e64 s0, 0, v22
	v_ashrrev_i32_e32 v38, 31, v38
	v_ashrrev_i32_e32 v39, 31, v39
	;; [unrolled: 6-line block ×4, first 2 shown]
	v_ashrrev_i32_e32 v48, 31, v48
	v_ashrrev_i32_e32 v49, 31, v49
	v_cndmask_b32_e64 v23, 0, 1, s0
	v_add_co_u32 v24, s0, v25, -1
	s_delay_alu instid0(VALU_DEP_1) | instskip(SKIP_4) | instid1(VALU_DEP_4)
	v_cndmask_b32_e64 v25, 0, 1, s0
	v_cmp_gt_i32_e64 s0, 0, v26
	v_ashrrev_i32_e32 v50, 31, v50
	v_ashrrev_i32_e32 v51, 31, v51
	;; [unrolled: 1-line block ×3, first 2 shown]
	v_cndmask_b32_e64 v26, 0, 1, s0
	v_cmp_gt_i32_e64 s0, 0, v27
	s_delay_alu instid0(VALU_DEP_1) | instskip(SKIP_1) | instid1(VALU_DEP_1)
	v_cndmask_b32_e64 v27, 0, 1, s0
	v_cmp_gt_i32_e64 s0, 0, v28
	v_cndmask_b32_e64 v28, 0, 1, s0
	v_cmp_gt_i32_e64 s0, 0, v29
	s_delay_alu instid0(VALU_DEP_1) | instskip(SKIP_1) | instid1(VALU_DEP_1)
	v_cndmask_b32_e64 v29, 0, 1, s0
	v_cmp_gt_i32_e64 s0, 0, v30
	;; [unrolled: 5-line block ×3, first 2 shown]
	v_cndmask_b32_e64 v53, 0, 1, s0
	s_branch .LBB2_2
.LBB2_1:                                ;   in Loop: Header=BB2_2 Depth=1
	s_or_b32 exec_lo, exec_lo, s1
	s_add_i32 s4, s4, -1
	s_waitcnt lgkmcnt(0)
	s_cmp_eq_u32 s4, 0
	s_barrier
	buffer_gl0_inv
	s_cbranch_scc1 .LBB2_10
.LBB2_2:                                ; =>This Inner Loop Header: Depth=1
	s_and_saveexec_b32 s0, vcc_lo
	s_cbranch_execz .LBB2_4
; %bb.3:                                ;   in Loop: Header=BB2_2 Depth=1
	ds_store_b32 v0, v3
.LBB2_4:                                ;   in Loop: Header=BB2_2 Depth=1
	s_or_b32 exec_lo, exec_lo, s0
	v_cmp_ne_u32_e64 s0, 0, v7
	v_cmp_ne_u32_e64 s1, 0, v8
	s_waitcnt lgkmcnt(0)
	s_barrier
	buffer_gl0_inv
	v_xor_b32_e32 v54, s0, v6
	v_cmp_ne_u32_e64 s0, 0, v9
	v_xor_b32_e32 v55, s1, v32
	v_cmp_ne_u32_e64 s1, 0, v10
	s_delay_alu instid0(VALU_DEP_4) | instskip(NEXT) | instid1(VALU_DEP_4)
	v_and_b32_e32 v54, exec_lo, v54
	v_xor_b32_e32 v56, s0, v33
	v_cmp_ne_u32_e64 s0, 0, v11
	s_delay_alu instid0(VALU_DEP_3) | instskip(SKIP_2) | instid1(VALU_DEP_3)
	v_and_b32_e32 v54, v54, v55
	v_xor_b32_e32 v55, s1, v34
	v_cmp_ne_u32_e64 s1, 0, v12
	v_and_b32_e32 v54, v54, v56
	v_xor_b32_e32 v56, s0, v35
	v_cmp_ne_u32_e64 s0, 0, v13
	s_delay_alu instid0(VALU_DEP_3) | instskip(SKIP_2) | instid1(VALU_DEP_2)
	v_and_b32_e32 v54, v54, v55
	v_xor_b32_e32 v55, s1, v36
	s_mov_b32 s1, exec_lo
	v_and_b32_e32 v54, v54, v56
	v_xor_b32_e32 v56, s0, v37
	v_cmp_ne_u32_e64 s0, 0, v14
	s_delay_alu instid0(VALU_DEP_3) | instskip(NEXT) | instid1(VALU_DEP_2)
	v_and_b32_e32 v54, v54, v55
	v_xor_b32_e32 v55, s0, v38
	s_delay_alu instid0(VALU_DEP_2) | instskip(NEXT) | instid1(VALU_DEP_1)
	v_and_b32_e32 v54, v54, v56
	v_and_b32_e32 v54, v54, v55
	s_delay_alu instid0(VALU_DEP_1) | instskip(NEXT) | instid1(VALU_DEP_1)
	v_mbcnt_lo_u32_b32 v55, v54, 0
	v_cmpx_eq_u32_e32 0, v55
	s_cbranch_execz .LBB2_6
; %bb.5:                                ;   in Loop: Header=BB2_2 Depth=1
	v_bcnt_u32_b32 v54, v54, 0
	ds_add_u32 v2, v54
.LBB2_6:                                ;   in Loop: Header=BB2_2 Depth=1
	s_or_b32 exec_lo, exec_lo, s1
	v_cmp_ne_u32_e64 s0, 0, v16
	v_cmp_ne_u32_e64 s1, 0, v17
	s_delay_alu instid0(VALU_DEP_2) | instskip(SKIP_1) | instid1(VALU_DEP_3)
	v_xor_b32_e32 v54, s0, v15
	v_cmp_ne_u32_e64 s0, 0, v18
	v_xor_b32_e32 v55, s1, v39
	v_cmp_ne_u32_e64 s1, 0, v19
	s_delay_alu instid0(VALU_DEP_4) | instskip(NEXT) | instid1(VALU_DEP_4)
	v_and_b32_e32 v54, exec_lo, v54
	v_xor_b32_e32 v56, s0, v40
	v_cmp_ne_u32_e64 s0, 0, v20
	s_delay_alu instid0(VALU_DEP_3) | instskip(SKIP_2) | instid1(VALU_DEP_3)
	v_and_b32_e32 v54, v54, v55
	v_xor_b32_e32 v55, s1, v41
	v_cmp_ne_u32_e64 s1, 0, v21
	v_and_b32_e32 v54, v54, v56
	v_xor_b32_e32 v56, s0, v42
	v_cmp_ne_u32_e64 s0, 0, v22
	s_delay_alu instid0(VALU_DEP_3) | instskip(SKIP_2) | instid1(VALU_DEP_2)
	v_and_b32_e32 v54, v54, v55
	v_xor_b32_e32 v55, s1, v43
	s_mov_b32 s1, exec_lo
	v_and_b32_e32 v54, v54, v56
	v_xor_b32_e32 v56, s0, v44
	v_cmp_ne_u32_e64 s0, 0, v23
	s_delay_alu instid0(VALU_DEP_3) | instskip(NEXT) | instid1(VALU_DEP_2)
	v_and_b32_e32 v54, v54, v55
	v_xor_b32_e32 v55, s0, v45
	s_delay_alu instid0(VALU_DEP_2) | instskip(NEXT) | instid1(VALU_DEP_1)
	v_and_b32_e32 v54, v54, v56
	v_and_b32_e32 v54, v54, v55
	s_delay_alu instid0(VALU_DEP_1) | instskip(NEXT) | instid1(VALU_DEP_1)
	v_mbcnt_lo_u32_b32 v55, v54, 0
	v_cmpx_eq_u32_e32 0, v55
	s_cbranch_execz .LBB2_8
; %bb.7:                                ;   in Loop: Header=BB2_2 Depth=1
	v_bcnt_u32_b32 v54, v54, 0
	ds_add_u32 v4, v54
.LBB2_8:                                ;   in Loop: Header=BB2_2 Depth=1
	s_or_b32 exec_lo, exec_lo, s1
	v_cmp_ne_u32_e64 s0, 0, v25
	v_cmp_ne_u32_e64 s1, 0, v26
	s_delay_alu instid0(VALU_DEP_2) | instskip(SKIP_1) | instid1(VALU_DEP_3)
	v_xor_b32_e32 v54, s0, v24
	v_cmp_ne_u32_e64 s0, 0, v27
	v_xor_b32_e32 v55, s1, v46
	v_cmp_ne_u32_e64 s1, 0, v28
	s_delay_alu instid0(VALU_DEP_4) | instskip(NEXT) | instid1(VALU_DEP_4)
	v_and_b32_e32 v54, exec_lo, v54
	v_xor_b32_e32 v56, s0, v47
	v_cmp_ne_u32_e64 s0, 0, v29
	s_delay_alu instid0(VALU_DEP_3) | instskip(SKIP_2) | instid1(VALU_DEP_3)
	v_and_b32_e32 v54, v54, v55
	v_xor_b32_e32 v55, s1, v48
	v_cmp_ne_u32_e64 s1, 0, v30
	v_and_b32_e32 v54, v54, v56
	v_xor_b32_e32 v56, s0, v49
	v_cmp_ne_u32_e64 s0, 0, v31
	s_delay_alu instid0(VALU_DEP_3) | instskip(SKIP_2) | instid1(VALU_DEP_2)
	v_and_b32_e32 v54, v54, v55
	v_xor_b32_e32 v55, s1, v50
	s_mov_b32 s1, exec_lo
	v_and_b32_e32 v54, v54, v56
	v_xor_b32_e32 v56, s0, v51
	v_cmp_ne_u32_e64 s0, 0, v53
	s_delay_alu instid0(VALU_DEP_3) | instskip(NEXT) | instid1(VALU_DEP_2)
	v_and_b32_e32 v54, v54, v55
	v_xor_b32_e32 v55, s0, v52
	s_delay_alu instid0(VALU_DEP_2) | instskip(NEXT) | instid1(VALU_DEP_1)
	v_and_b32_e32 v54, v54, v56
	v_and_b32_e32 v54, v54, v55
	s_delay_alu instid0(VALU_DEP_1) | instskip(NEXT) | instid1(VALU_DEP_1)
	v_mbcnt_lo_u32_b32 v55, v54, 0
	v_cmpx_eq_u32_e32 0, v55
	s_cbranch_execz .LBB2_1
; %bb.9:                                ;   in Loop: Header=BB2_2 Depth=1
	v_bcnt_u32_b32 v54, v54, 0
	ds_add_u32 v5, v54
	s_branch .LBB2_1
.LBB2_10:
	s_and_saveexec_b32 s0, vcc_lo
	s_cbranch_execz .LBB2_12
; %bb.11:
	ds_load_b32 v3, v0
	v_mov_b32_e32 v2, 0
	s_delay_alu instid0(VALU_DEP_1) | instskip(NEXT) | instid1(VALU_DEP_1)
	v_lshlrev_b64 v[0:1], 2, v[1:2]
	v_add_co_u32 v0, vcc_lo, s2, v0
	s_delay_alu instid0(VALU_DEP_2)
	v_add_co_ci_u32_e32 v1, vcc_lo, s3, v1, vcc_lo
	s_waitcnt lgkmcnt(0)
	global_store_b32 v[0:1], v3, off
.LBB2_12:
	s_nop 0
	s_sendmsg sendmsg(MSG_DEALLOC_VGPRS)
	s_endpgm
	.section	.rodata,"a",@progbits
	.p2align	6, 0x0
	.amdhsa_kernel _Z6kernelI9histogramILN6hipcub23BlockHistogramAlgorithmE0EEiLj256ELj3ELj256ELj100EEvPKT0_PS4_
		.amdhsa_group_segment_fixed_size 1024
		.amdhsa_private_segment_fixed_size 0
		.amdhsa_kernarg_size 16
		.amdhsa_user_sgpr_count 15
		.amdhsa_user_sgpr_dispatch_ptr 0
		.amdhsa_user_sgpr_queue_ptr 0
		.amdhsa_user_sgpr_kernarg_segment_ptr 1
		.amdhsa_user_sgpr_dispatch_id 0
		.amdhsa_user_sgpr_private_segment_size 0
		.amdhsa_wavefront_size32 1
		.amdhsa_uses_dynamic_stack 0
		.amdhsa_enable_private_segment 0
		.amdhsa_system_sgpr_workgroup_id_x 1
		.amdhsa_system_sgpr_workgroup_id_y 0
		.amdhsa_system_sgpr_workgroup_id_z 0
		.amdhsa_system_sgpr_workgroup_info 0
		.amdhsa_system_vgpr_workitem_id 0
		.amdhsa_next_free_vgpr 57
		.amdhsa_next_free_sgpr 16
		.amdhsa_reserve_vcc 1
		.amdhsa_float_round_mode_32 0
		.amdhsa_float_round_mode_16_64 0
		.amdhsa_float_denorm_mode_32 3
		.amdhsa_float_denorm_mode_16_64 3
		.amdhsa_dx10_clamp 1
		.amdhsa_ieee_mode 1
		.amdhsa_fp16_overflow 0
		.amdhsa_workgroup_processor_mode 1
		.amdhsa_memory_ordered 1
		.amdhsa_forward_progress 0
		.amdhsa_shared_vgpr_count 0
		.amdhsa_exception_fp_ieee_invalid_op 0
		.amdhsa_exception_fp_denorm_src 0
		.amdhsa_exception_fp_ieee_div_zero 0
		.amdhsa_exception_fp_ieee_overflow 0
		.amdhsa_exception_fp_ieee_underflow 0
		.amdhsa_exception_fp_ieee_inexact 0
		.amdhsa_exception_int_div_zero 0
	.end_amdhsa_kernel
	.section	.text._Z6kernelI9histogramILN6hipcub23BlockHistogramAlgorithmE0EEiLj256ELj3ELj256ELj100EEvPKT0_PS4_,"axG",@progbits,_Z6kernelI9histogramILN6hipcub23BlockHistogramAlgorithmE0EEiLj256ELj3ELj256ELj100EEvPKT0_PS4_,comdat
.Lfunc_end2:
	.size	_Z6kernelI9histogramILN6hipcub23BlockHistogramAlgorithmE0EEiLj256ELj3ELj256ELj100EEvPKT0_PS4_, .Lfunc_end2-_Z6kernelI9histogramILN6hipcub23BlockHistogramAlgorithmE0EEiLj256ELj3ELj256ELj100EEvPKT0_PS4_
                                        ; -- End function
	.section	.AMDGPU.csdata,"",@progbits
; Kernel info:
; codeLenInByte = 1584
; NumSgprs: 18
; NumVgprs: 57
; ScratchSize: 0
; MemoryBound: 0
; FloatMode: 240
; IeeeMode: 1
; LDSByteSize: 1024 bytes/workgroup (compile time only)
; SGPRBlocks: 2
; VGPRBlocks: 7
; NumSGPRsForWavesPerEU: 18
; NumVGPRsForWavesPerEU: 57
; Occupancy: 16
; WaveLimiterHint : 0
; COMPUTE_PGM_RSRC2:SCRATCH_EN: 0
; COMPUTE_PGM_RSRC2:USER_SGPR: 15
; COMPUTE_PGM_RSRC2:TRAP_HANDLER: 0
; COMPUTE_PGM_RSRC2:TGID_X_EN: 1
; COMPUTE_PGM_RSRC2:TGID_Y_EN: 0
; COMPUTE_PGM_RSRC2:TGID_Z_EN: 0
; COMPUTE_PGM_RSRC2:TIDIG_COMP_CNT: 0
	.section	.text._Z6kernelI9histogramILN6hipcub23BlockHistogramAlgorithmE0EEiLj256ELj4ELj256ELj100EEvPKT0_PS4_,"axG",@progbits,_Z6kernelI9histogramILN6hipcub23BlockHistogramAlgorithmE0EEiLj256ELj4ELj256ELj100EEvPKT0_PS4_,comdat
	.protected	_Z6kernelI9histogramILN6hipcub23BlockHistogramAlgorithmE0EEiLj256ELj4ELj256ELj100EEvPKT0_PS4_ ; -- Begin function _Z6kernelI9histogramILN6hipcub23BlockHistogramAlgorithmE0EEiLj256ELj4ELj256ELj100EEvPKT0_PS4_
	.globl	_Z6kernelI9histogramILN6hipcub23BlockHistogramAlgorithmE0EEiLj256ELj4ELj256ELj100EEvPKT0_PS4_
	.p2align	8
	.type	_Z6kernelI9histogramILN6hipcub23BlockHistogramAlgorithmE0EEiLj256ELj4ELj256ELj100EEvPKT0_PS4_,@function
_Z6kernelI9histogramILN6hipcub23BlockHistogramAlgorithmE0EEiLj256ELj4ELj256ELj100EEvPKT0_PS4_: ; @_Z6kernelI9histogramILN6hipcub23BlockHistogramAlgorithmE0EEiLj256ELj4ELj256ELj100EEvPKT0_PS4_
; %bb.0:
	s_load_b128 s[16:19], s[0:1], 0x0
	v_dual_mov_b32 v2, 0 :: v_dual_lshlrev_b32 v3, 2, v0
	s_movk_i32 s13, 0x64
	s_delay_alu instid0(VALU_DEP_1) | instskip(NEXT) | instid1(VALU_DEP_1)
	v_lshl_or_b32 v1, s15, 10, v3
	v_lshlrev_b64 v[4:5], 2, v[1:2]
	s_waitcnt lgkmcnt(0)
	s_delay_alu instid0(VALU_DEP_1) | instskip(NEXT) | instid1(VALU_DEP_2)
	v_add_co_u32 v4, vcc_lo, s16, v4
	v_add_co_ci_u32_e32 v5, vcc_lo, s17, v5, vcc_lo
	v_cmp_gt_u32_e32 vcc_lo, 0x100, v0
	global_load_b128 v[4:7], v[4:5], off
	s_waitcnt vmcnt(0)
	v_and_b32_e32 v8, 1, v4
	v_lshlrev_b32_e32 v10, 30, v4
	v_lshlrev_b32_e32 v9, 26, v6
	;; [unrolled: 1-line block ×4, first 2 shown]
	v_add_co_u32 v8, s10, v8, -1
	s_delay_alu instid0(VALU_DEP_4)
	v_cmp_gt_i32_e64 s0, 0, v9
	v_not_b32_e32 v57, v9
	v_cndmask_b32_e64 v9, 0, 1, s10
	v_cmp_gt_i32_e64 s10, 0, v10
	v_not_b32_e32 v39, v10
	v_lshlrev_b32_e32 v13, 27, v4
	v_not_b32_e32 v40, v11
	v_lshlrev_b32_e32 v14, 26, v4
	v_cndmask_b32_e64 v10, 0, 1, s10
	v_cmp_gt_i32_e64 s10, 0, v11
	v_not_b32_e32 v41, v12
	v_lshlrev_b32_e32 v15, 25, v4
	v_not_b32_e32 v42, v13
	v_lshlrev_b32_e32 v16, 24, v4
	v_cndmask_b32_e64 v11, 0, 1, s10
	v_cmp_gt_i32_e64 s10, 0, v12
	v_not_b32_e32 v43, v14
	v_and_b32_e32 v17, 1, v5
	v_not_b32_e32 v44, v15
	v_lshlrev_b32_e32 v19, 30, v5
	v_cndmask_b32_e64 v12, 0, 1, s10
	v_cmp_gt_i32_e64 s10, 0, v13
	v_lshlrev_b32_e32 v18, 25, v6
	v_not_b32_e32 v45, v16
	v_lshlrev_b32_e32 v20, 29, v5
	v_lshlrev_b32_e32 v21, 28, v5
	v_cndmask_b32_e64 v13, 0, 1, s10
	v_cmp_gt_i32_e64 s10, 0, v14
	v_cmp_gt_i32_e64 s1, 0, v18
	v_not_b32_e32 v58, v18
	v_not_b32_e32 v46, v19
	v_lshlrev_b32_e32 v22, 27, v5
	v_cndmask_b32_e64 v14, 0, 1, s10
	v_cmp_gt_i32_e64 s10, 0, v15
	v_not_b32_e32 v47, v20
	v_lshlrev_b32_e32 v23, 26, v5
	v_not_b32_e32 v48, v21
	v_lshlrev_b32_e32 v24, 25, v5
	v_cndmask_b32_e64 v15, 0, 1, s10
	v_cmp_gt_i32_e64 s10, 0, v16
	v_not_b32_e32 v49, v22
	v_lshlrev_b32_e32 v25, 24, v5
	v_not_b32_e32 v50, v23
	v_and_b32_e32 v26, 1, v6
	v_cndmask_b32_e64 v16, 0, 1, s10
	v_add_co_u32 v17, s10, v17, -1
	s_delay_alu instid0(VALU_DEP_1)
	v_cndmask_b32_e64 v18, 0, 1, s10
	v_cmp_gt_i32_e64 s10, 0, v19
	v_not_b32_e32 v51, v24
	v_lshlrev_b32_e32 v28, 30, v6
	v_lshlrev_b32_e32 v27, 24, v6
	v_not_b32_e32 v52, v25
	v_cndmask_b32_e64 v19, 0, 1, s10
	v_cmp_gt_i32_e64 s10, 0, v20
	v_lshlrev_b32_e32 v29, 29, v6
	v_cmp_gt_i32_e64 s2, 0, v27
	v_not_b32_e32 v60, v27
	v_lshlrev_b32_e32 v30, 28, v6
	v_cndmask_b32_e64 v20, 0, 1, s10
	v_cmp_gt_i32_e64 s10, 0, v21
	v_not_b32_e32 v53, v28
	v_lshlrev_b32_e32 v59, 27, v6
	v_lshlrev_b32_e32 v32, 30, v7
	;; [unrolled: 1-line block ×3, first 2 shown]
	v_cndmask_b32_e64 v21, 0, 1, s10
	v_cmp_gt_i32_e64 s10, 0, v22
	v_lshlrev_b32_e32 v34, 28, v7
	v_lshlrev_b32_e32 v35, 27, v7
	;; [unrolled: 1-line block ×4, first 2 shown]
	v_cndmask_b32_e64 v22, 0, 1, s10
	v_cmp_gt_i32_e64 s10, 0, v23
	v_lshlrev_b32_e32 v38, 24, v7
	v_not_b32_e32 v54, v29
	v_and_b32_e32 v31, 1, v7
	v_not_b32_e32 v55, v30
	v_cndmask_b32_e64 v23, 0, 1, s10
	v_cmp_gt_i32_e64 s10, 0, v24
	v_not_b32_e32 v56, v59
	v_not_b32_e32 v61, v32
	;; [unrolled: 1-line block ×4, first 2 shown]
	v_cndmask_b32_e64 v24, 0, 1, s10
	v_cmp_gt_i32_e64 s10, 0, v25
	v_not_b32_e32 v64, v35
	v_not_b32_e32 v65, v36
	;; [unrolled: 1-line block ×4, first 2 shown]
	v_cndmask_b32_e64 v25, 0, 1, s10
	v_add_co_u32 v26, s10, v26, -1
	s_delay_alu instid0(VALU_DEP_1)
	v_cndmask_b32_e64 v27, 0, 1, s10
	v_cmp_gt_i32_e64 s10, 0, v28
	v_lshlrev_b32_e32 v1, 2, v4
	v_lshlrev_b32_e32 v4, 2, v5
	;; [unrolled: 1-line block ×4, first 2 shown]
	v_cndmask_b32_e64 v28, 0, 1, s10
	v_cmp_gt_i32_e64 s10, 0, v29
	v_add_co_u32 v7, s12, v31, -1
	v_cmp_gt_i32_e64 s3, 0, v32
	v_cmp_gt_i32_e64 s4, 0, v33
	s_delay_alu instid0(VALU_DEP_4)
	v_cndmask_b32_e64 v29, 0, 1, s10
	v_cmp_gt_i32_e64 s10, 0, v30
	v_cmp_gt_i32_e64 s5, 0, v34
	;; [unrolled: 1-line block ×5, first 2 shown]
	v_cndmask_b32_e64 v30, 0, 1, s10
	v_cmp_gt_i32_e64 s10, 0, v59
	v_cmp_gt_i32_e64 s9, 0, v38
	v_ashrrev_i32_e32 v31, 31, v39
	v_ashrrev_i32_e32 v32, 31, v40
	;; [unrolled: 1-line block ×28, first 2 shown]
	v_cndmask_b32_e64 v59, 0, 1, s10
	s_branch .LBB3_2
.LBB3_1:                                ;   in Loop: Header=BB3_2 Depth=1
	s_or_b32 exec_lo, exec_lo, s11
	s_add_i32 s13, s13, -1
	s_waitcnt lgkmcnt(0)
	s_cmp_eq_u32 s13, 0
	s_barrier
	buffer_gl0_inv
	s_cbranch_scc1 .LBB3_12
.LBB3_2:                                ; =>This Inner Loop Header: Depth=1
	s_and_saveexec_b32 s10, vcc_lo
	s_cbranch_execz .LBB3_4
; %bb.3:                                ;   in Loop: Header=BB3_2 Depth=1
	ds_store_b32 v3, v2
.LBB3_4:                                ;   in Loop: Header=BB3_2 Depth=1
	s_or_b32 exec_lo, exec_lo, s10
	v_cmp_ne_u32_e64 s10, 0, v9
	v_cmp_ne_u32_e64 s11, 0, v10
	s_waitcnt lgkmcnt(0)
	s_barrier
	buffer_gl0_inv
	v_xor_b32_e32 v60, s10, v8
	v_cmp_ne_u32_e64 s10, 0, v11
	v_xor_b32_e32 v61, s11, v31
	v_cmp_ne_u32_e64 s11, 0, v12
	s_delay_alu instid0(VALU_DEP_4) | instskip(NEXT) | instid1(VALU_DEP_4)
	v_and_b32_e32 v60, exec_lo, v60
	v_xor_b32_e32 v62, s10, v32
	v_cmp_ne_u32_e64 s10, 0, v13
	s_delay_alu instid0(VALU_DEP_3) | instskip(SKIP_2) | instid1(VALU_DEP_3)
	v_and_b32_e32 v60, v60, v61
	v_xor_b32_e32 v61, s11, v33
	v_cmp_ne_u32_e64 s11, 0, v14
	v_and_b32_e32 v60, v60, v62
	v_xor_b32_e32 v62, s10, v34
	v_cmp_ne_u32_e64 s10, 0, v15
	s_delay_alu instid0(VALU_DEP_3) | instskip(SKIP_2) | instid1(VALU_DEP_2)
	v_and_b32_e32 v60, v60, v61
	v_xor_b32_e32 v61, s11, v35
	s_mov_b32 s11, exec_lo
	v_and_b32_e32 v60, v60, v62
	v_xor_b32_e32 v62, s10, v36
	v_cmp_ne_u32_e64 s10, 0, v16
	s_delay_alu instid0(VALU_DEP_3) | instskip(NEXT) | instid1(VALU_DEP_2)
	v_and_b32_e32 v60, v60, v61
	v_xor_b32_e32 v61, s10, v37
	s_delay_alu instid0(VALU_DEP_2) | instskip(NEXT) | instid1(VALU_DEP_1)
	v_and_b32_e32 v60, v60, v62
	v_and_b32_e32 v60, v60, v61
	s_delay_alu instid0(VALU_DEP_1) | instskip(NEXT) | instid1(VALU_DEP_1)
	v_mbcnt_lo_u32_b32 v61, v60, 0
	v_cmpx_eq_u32_e32 0, v61
	s_cbranch_execz .LBB3_6
; %bb.5:                                ;   in Loop: Header=BB3_2 Depth=1
	v_bcnt_u32_b32 v60, v60, 0
	ds_add_u32 v1, v60
.LBB3_6:                                ;   in Loop: Header=BB3_2 Depth=1
	s_or_b32 exec_lo, exec_lo, s11
	v_cmp_ne_u32_e64 s10, 0, v18
	v_cmp_ne_u32_e64 s11, 0, v19
	s_delay_alu instid0(VALU_DEP_2) | instskip(SKIP_1) | instid1(VALU_DEP_3)
	v_xor_b32_e32 v60, s10, v17
	v_cmp_ne_u32_e64 s10, 0, v20
	v_xor_b32_e32 v61, s11, v38
	v_cmp_ne_u32_e64 s11, 0, v21
	s_delay_alu instid0(VALU_DEP_4) | instskip(NEXT) | instid1(VALU_DEP_4)
	v_and_b32_e32 v60, exec_lo, v60
	v_xor_b32_e32 v62, s10, v39
	v_cmp_ne_u32_e64 s10, 0, v22
	s_delay_alu instid0(VALU_DEP_3) | instskip(SKIP_2) | instid1(VALU_DEP_3)
	v_and_b32_e32 v60, v60, v61
	v_xor_b32_e32 v61, s11, v40
	v_cmp_ne_u32_e64 s11, 0, v23
	v_and_b32_e32 v60, v60, v62
	v_xor_b32_e32 v62, s10, v41
	v_cmp_ne_u32_e64 s10, 0, v24
	s_delay_alu instid0(VALU_DEP_3) | instskip(SKIP_2) | instid1(VALU_DEP_2)
	v_and_b32_e32 v60, v60, v61
	v_xor_b32_e32 v61, s11, v42
	s_mov_b32 s11, exec_lo
	v_and_b32_e32 v60, v60, v62
	v_xor_b32_e32 v62, s10, v43
	v_cmp_ne_u32_e64 s10, 0, v25
	s_delay_alu instid0(VALU_DEP_3) | instskip(NEXT) | instid1(VALU_DEP_2)
	v_and_b32_e32 v60, v60, v61
	v_xor_b32_e32 v61, s10, v44
	s_delay_alu instid0(VALU_DEP_2) | instskip(NEXT) | instid1(VALU_DEP_1)
	v_and_b32_e32 v60, v60, v62
	v_and_b32_e32 v60, v60, v61
	s_delay_alu instid0(VALU_DEP_1) | instskip(NEXT) | instid1(VALU_DEP_1)
	v_mbcnt_lo_u32_b32 v61, v60, 0
	v_cmpx_eq_u32_e32 0, v61
	s_cbranch_execz .LBB3_8
; %bb.7:                                ;   in Loop: Header=BB3_2 Depth=1
	v_bcnt_u32_b32 v60, v60, 0
	ds_add_u32 v4, v60
.LBB3_8:                                ;   in Loop: Header=BB3_2 Depth=1
	s_or_b32 exec_lo, exec_lo, s11
	v_cmp_ne_u32_e64 s10, 0, v27
	v_cmp_ne_u32_e64 s11, 0, v28
	s_delay_alu instid0(VALU_DEP_2) | instskip(SKIP_1) | instid1(VALU_DEP_3)
	v_xor_b32_e32 v60, s10, v26
	v_cmp_ne_u32_e64 s10, 0, v29
	v_xor_b32_e32 v61, s11, v45
	v_cmp_ne_u32_e64 s11, 0, v30
	s_delay_alu instid0(VALU_DEP_4) | instskip(NEXT) | instid1(VALU_DEP_4)
	v_and_b32_e32 v60, exec_lo, v60
	v_xor_b32_e32 v62, s10, v46
	v_cmp_ne_u32_e64 s10, 0, v59
	s_delay_alu instid0(VALU_DEP_4) | instskip(NEXT) | instid1(VALU_DEP_4)
	v_xor_b32_e32 v63, s11, v47
	v_and_b32_e32 v60, v60, v61
	v_cndmask_b32_e64 v61, 0, 1, s0
	s_delay_alu instid0(VALU_DEP_4) | instskip(NEXT) | instid1(VALU_DEP_3)
	v_xor_b32_e32 v64, s10, v48
	v_and_b32_e32 v60, v60, v62
	v_cndmask_b32_e64 v62, 0, 1, s1
	s_delay_alu instid0(VALU_DEP_4) | instskip(NEXT) | instid1(VALU_DEP_3)
	v_cmp_ne_u32_e64 s10, 0, v61
	v_and_b32_e32 v60, v60, v63
	s_delay_alu instid0(VALU_DEP_3) | instskip(NEXT) | instid1(VALU_DEP_3)
	v_cmp_ne_u32_e64 s11, 0, v62
	v_xor_b32_e32 v61, s10, v49
	v_cndmask_b32_e64 v62, 0, 1, s2
	s_delay_alu instid0(VALU_DEP_4) | instskip(NEXT) | instid1(VALU_DEP_4)
	v_and_b32_e32 v60, v60, v64
	v_xor_b32_e32 v63, s11, v50
	s_mov_b32 s11, exec_lo
	s_delay_alu instid0(VALU_DEP_3) | instskip(NEXT) | instid1(VALU_DEP_3)
	v_cmp_ne_u32_e64 s10, 0, v62
	v_and_b32_e32 v60, v60, v61
	s_delay_alu instid0(VALU_DEP_2) | instskip(NEXT) | instid1(VALU_DEP_2)
	v_xor_b32_e32 v61, s10, v51
	v_and_b32_e32 v60, v60, v63
	s_delay_alu instid0(VALU_DEP_1) | instskip(NEXT) | instid1(VALU_DEP_1)
	v_and_b32_e32 v60, v60, v61
	v_mbcnt_lo_u32_b32 v61, v60, 0
	s_delay_alu instid0(VALU_DEP_1)
	v_cmpx_eq_u32_e32 0, v61
	s_cbranch_execz .LBB3_10
; %bb.9:                                ;   in Loop: Header=BB3_2 Depth=1
	v_bcnt_u32_b32 v60, v60, 0
	ds_add_u32 v5, v60
.LBB3_10:                               ;   in Loop: Header=BB3_2 Depth=1
	s_or_b32 exec_lo, exec_lo, s11
	v_cndmask_b32_e64 v60, 0, 1, s12
	v_cndmask_b32_e64 v61, 0, 1, s3
	;; [unrolled: 1-line block ×4, first 2 shown]
	s_delay_alu instid0(VALU_DEP_4) | instskip(SKIP_2) | instid1(VALU_DEP_3)
	v_cmp_ne_u32_e64 s10, 0, v60
	v_cndmask_b32_e64 v60, 0, 1, s4
	v_cmp_ne_u32_e64 s11, 0, v61
	v_xor_b32_e32 v61, s10, v7
	s_delay_alu instid0(VALU_DEP_3) | instskip(NEXT) | instid1(VALU_DEP_3)
	v_cmp_ne_u32_e64 s10, 0, v60
	v_xor_b32_e32 v60, s11, v52
	v_cmp_ne_u32_e64 s11, 0, v62
	s_delay_alu instid0(VALU_DEP_4) | instskip(NEXT) | instid1(VALU_DEP_4)
	v_and_b32_e32 v61, exec_lo, v61
	v_xor_b32_e32 v62, s10, v53
	v_cmp_ne_u32_e64 s10, 0, v63
	s_delay_alu instid0(VALU_DEP_4) | instskip(NEXT) | instid1(VALU_DEP_4)
	v_xor_b32_e32 v63, s11, v54
	v_and_b32_e32 v60, v61, v60
	v_cndmask_b32_e64 v61, 0, 1, s7
	s_delay_alu instid0(VALU_DEP_2) | instskip(SKIP_1) | instid1(VALU_DEP_3)
	v_and_b32_e32 v60, v60, v62
	v_cndmask_b32_e64 v62, 0, 1, s8
	v_cmp_ne_u32_e64 s11, 0, v61
	v_xor_b32_e32 v61, s10, v55
	s_delay_alu instid0(VALU_DEP_4) | instskip(NEXT) | instid1(VALU_DEP_4)
	v_and_b32_e32 v60, v60, v63
	v_cmp_ne_u32_e64 s10, 0, v62
	s_delay_alu instid0(VALU_DEP_4) | instskip(SKIP_1) | instid1(VALU_DEP_3)
	v_xor_b32_e32 v62, s11, v56
	s_mov_b32 s11, exec_lo
	v_and_b32_e32 v60, v60, v61
	v_cndmask_b32_e64 v61, 0, 1, s9
	v_xor_b32_e32 v63, s10, v57
	s_delay_alu instid0(VALU_DEP_3) | instskip(NEXT) | instid1(VALU_DEP_3)
	v_and_b32_e32 v60, v60, v62
	v_cmp_ne_u32_e64 s10, 0, v61
	s_delay_alu instid0(VALU_DEP_2) | instskip(NEXT) | instid1(VALU_DEP_2)
	v_and_b32_e32 v60, v60, v63
	v_xor_b32_e32 v61, s10, v58
	s_delay_alu instid0(VALU_DEP_1) | instskip(NEXT) | instid1(VALU_DEP_1)
	v_and_b32_e32 v60, v60, v61
	v_mbcnt_lo_u32_b32 v61, v60, 0
	s_delay_alu instid0(VALU_DEP_1)
	v_cmpx_eq_u32_e32 0, v61
	s_cbranch_execz .LBB3_1
; %bb.11:                               ;   in Loop: Header=BB3_2 Depth=1
	v_bcnt_u32_b32 v60, v60, 0
	ds_add_u32 v6, v60
	s_branch .LBB3_1
.LBB3_12:
	s_and_saveexec_b32 s0, vcc_lo
	s_cbranch_execz .LBB3_14
; %bb.13:
	ds_load_b32 v2, v3
	v_lshl_or_b32 v0, s15, 8, v0
	v_mov_b32_e32 v1, 0
	s_delay_alu instid0(VALU_DEP_1) | instskip(NEXT) | instid1(VALU_DEP_1)
	v_lshlrev_b64 v[0:1], 2, v[0:1]
	v_add_co_u32 v0, vcc_lo, s18, v0
	s_delay_alu instid0(VALU_DEP_2)
	v_add_co_ci_u32_e32 v1, vcc_lo, s19, v1, vcc_lo
	s_waitcnt lgkmcnt(0)
	global_store_b32 v[0:1], v2, off
.LBB3_14:
	s_nop 0
	s_sendmsg sendmsg(MSG_DEALLOC_VGPRS)
	s_endpgm
	.section	.rodata,"a",@progbits
	.p2align	6, 0x0
	.amdhsa_kernel _Z6kernelI9histogramILN6hipcub23BlockHistogramAlgorithmE0EEiLj256ELj4ELj256ELj100EEvPKT0_PS4_
		.amdhsa_group_segment_fixed_size 1024
		.amdhsa_private_segment_fixed_size 0
		.amdhsa_kernarg_size 16
		.amdhsa_user_sgpr_count 15
		.amdhsa_user_sgpr_dispatch_ptr 0
		.amdhsa_user_sgpr_queue_ptr 0
		.amdhsa_user_sgpr_kernarg_segment_ptr 1
		.amdhsa_user_sgpr_dispatch_id 0
		.amdhsa_user_sgpr_private_segment_size 0
		.amdhsa_wavefront_size32 1
		.amdhsa_uses_dynamic_stack 0
		.amdhsa_enable_private_segment 0
		.amdhsa_system_sgpr_workgroup_id_x 1
		.amdhsa_system_sgpr_workgroup_id_y 0
		.amdhsa_system_sgpr_workgroup_id_z 0
		.amdhsa_system_sgpr_workgroup_info 0
		.amdhsa_system_vgpr_workitem_id 0
		.amdhsa_next_free_vgpr 68
		.amdhsa_next_free_sgpr 20
		.amdhsa_reserve_vcc 1
		.amdhsa_float_round_mode_32 0
		.amdhsa_float_round_mode_16_64 0
		.amdhsa_float_denorm_mode_32 3
		.amdhsa_float_denorm_mode_16_64 3
		.amdhsa_dx10_clamp 1
		.amdhsa_ieee_mode 1
		.amdhsa_fp16_overflow 0
		.amdhsa_workgroup_processor_mode 1
		.amdhsa_memory_ordered 1
		.amdhsa_forward_progress 0
		.amdhsa_shared_vgpr_count 0
		.amdhsa_exception_fp_ieee_invalid_op 0
		.amdhsa_exception_fp_denorm_src 0
		.amdhsa_exception_fp_ieee_div_zero 0
		.amdhsa_exception_fp_ieee_overflow 0
		.amdhsa_exception_fp_ieee_underflow 0
		.amdhsa_exception_fp_ieee_inexact 0
		.amdhsa_exception_int_div_zero 0
	.end_amdhsa_kernel
	.section	.text._Z6kernelI9histogramILN6hipcub23BlockHistogramAlgorithmE0EEiLj256ELj4ELj256ELj100EEvPKT0_PS4_,"axG",@progbits,_Z6kernelI9histogramILN6hipcub23BlockHistogramAlgorithmE0EEiLj256ELj4ELj256ELj100EEvPKT0_PS4_,comdat
.Lfunc_end3:
	.size	_Z6kernelI9histogramILN6hipcub23BlockHistogramAlgorithmE0EEiLj256ELj4ELj256ELj100EEvPKT0_PS4_, .Lfunc_end3-_Z6kernelI9histogramILN6hipcub23BlockHistogramAlgorithmE0EEiLj256ELj4ELj256ELj100EEvPKT0_PS4_
                                        ; -- End function
	.section	.AMDGPU.csdata,"",@progbits
; Kernel info:
; codeLenInByte = 1940
; NumSgprs: 22
; NumVgprs: 68
; ScratchSize: 0
; MemoryBound: 0
; FloatMode: 240
; IeeeMode: 1
; LDSByteSize: 1024 bytes/workgroup (compile time only)
; SGPRBlocks: 2
; VGPRBlocks: 8
; NumSGPRsForWavesPerEU: 22
; NumVGPRsForWavesPerEU: 68
; Occupancy: 16
; WaveLimiterHint : 0
; COMPUTE_PGM_RSRC2:SCRATCH_EN: 0
; COMPUTE_PGM_RSRC2:USER_SGPR: 15
; COMPUTE_PGM_RSRC2:TRAP_HANDLER: 0
; COMPUTE_PGM_RSRC2:TGID_X_EN: 1
; COMPUTE_PGM_RSRC2:TGID_Y_EN: 0
; COMPUTE_PGM_RSRC2:TGID_Z_EN: 0
; COMPUTE_PGM_RSRC2:TIDIG_COMP_CNT: 0
	.section	.text._Z6kernelI9histogramILN6hipcub23BlockHistogramAlgorithmE0EEiLj256ELj8ELj256ELj100EEvPKT0_PS4_,"axG",@progbits,_Z6kernelI9histogramILN6hipcub23BlockHistogramAlgorithmE0EEiLj256ELj8ELj256ELj100EEvPKT0_PS4_,comdat
	.protected	_Z6kernelI9histogramILN6hipcub23BlockHistogramAlgorithmE0EEiLj256ELj8ELj256ELj100EEvPKT0_PS4_ ; -- Begin function _Z6kernelI9histogramILN6hipcub23BlockHistogramAlgorithmE0EEiLj256ELj8ELj256ELj100EEvPKT0_PS4_
	.globl	_Z6kernelI9histogramILN6hipcub23BlockHistogramAlgorithmE0EEiLj256ELj8ELj256ELj100EEvPKT0_PS4_
	.p2align	8
	.type	_Z6kernelI9histogramILN6hipcub23BlockHistogramAlgorithmE0EEiLj256ELj8ELj256ELj100EEvPKT0_PS4_,@function
_Z6kernelI9histogramILN6hipcub23BlockHistogramAlgorithmE0EEiLj256ELj8ELj256ELj100EEvPKT0_PS4_: ; @_Z6kernelI9histogramILN6hipcub23BlockHistogramAlgorithmE0EEiLj256ELj8ELj256ELj100EEvPKT0_PS4_
; %bb.0:
	s_load_b128 s[60:63], s[0:1], 0x0
	v_dual_mov_b32 v2, 0 :: v_dual_lshlrev_b32 v1, 3, v0
	s_movk_i32 s70, 0x64
	s_delay_alu instid0(VALU_DEP_1) | instskip(NEXT) | instid1(VALU_DEP_1)
	v_lshl_or_b32 v1, s15, 11, v1
	v_lshlrev_b64 v[3:4], 2, v[1:2]
	v_lshlrev_b32_e32 v1, 2, v0
	s_waitcnt lgkmcnt(0)
	s_delay_alu instid0(VALU_DEP_2) | instskip(NEXT) | instid1(VALU_DEP_3)
	v_add_co_u32 v7, vcc_lo, s60, v3
	v_add_co_ci_u32_e32 v8, vcc_lo, s61, v4, vcc_lo
	v_cmp_gt_u32_e32 vcc_lo, 0x100, v0
	s_clause 0x1
	global_load_b128 v[3:6], v[7:8], off
	global_load_b128 v[71:74], v[7:8], off offset:16
	s_waitcnt vmcnt(1)
	v_lshlrev_b32_e32 v11, 30, v3
	v_lshlrev_b32_e32 v12, 29, v3
	;; [unrolled: 1-line block ×28, first 2 shown]
	s_waitcnt vmcnt(0)
	v_lshlrev_b32_e32 v43, 30, v71
	v_lshlrev_b32_e32 v44, 29, v71
	;; [unrolled: 1-line block ×28, first 2 shown]
	v_and_b32_e32 v10, 1, v3
	v_and_b32_e32 v18, 1, v4
	;; [unrolled: 1-line block ×8, first 2 shown]
	v_lshlrev_b32_e32 v7, 2, v71
	v_lshlrev_b32_e32 v8, 2, v72
	;; [unrolled: 1-line block ×3, first 2 shown]
	v_not_b32_e32 v71, v11
	v_not_b32_e32 v72, v12
	;; [unrolled: 1-line block ×49, first 2 shown]
	v_cmp_gt_i32_e64 s51, 0, v67
	v_not_b32_e32 v67, v67
	v_cmp_gt_i32_e64 s52, 0, v68
	v_not_b32_e32 v68, v68
	;; [unrolled: 2-line block ×7, first 2 shown]
	v_lshlrev_b32_e32 v3, 2, v3
	v_lshlrev_b32_e32 v4, 2, v4
	;; [unrolled: 1-line block ×4, first 2 shown]
	v_add_co_u32 v10, s60, v10, -1
	v_cmp_gt_i32_e64 s0, 0, v11
	v_cmp_gt_i32_e64 s1, 0, v12
	v_cmp_gt_i32_e64 s2, 0, v13
	v_cmp_gt_i32_e64 s3, 0, v14
	v_cmp_gt_i32_e64 s4, 0, v15
	v_cmp_gt_i32_e64 s5, 0, v16
	v_cmp_gt_i32_e64 s6, 0, v17
	v_add_co_u32 v11, s61, v18, -1
	v_cmp_gt_i32_e64 s7, 0, v19
	v_cmp_gt_i32_e64 s8, 0, v20
	v_cmp_gt_i32_e64 s9, 0, v21
	v_cmp_gt_i32_e64 s10, 0, v22
	v_cmp_gt_i32_e64 s11, 0, v23
	v_cmp_gt_i32_e64 s12, 0, v24
	v_cmp_gt_i32_e64 s13, 0, v25
	v_add_co_u32 v12, s64, v26, -1
	v_cmp_gt_i32_e64 s14, 0, v27
	v_cmp_gt_i32_e64 s16, 0, v28
	v_cmp_gt_i32_e64 s17, 0, v29
	v_cmp_gt_i32_e64 s18, 0, v30
	v_cmp_gt_i32_e64 s19, 0, v31
	v_cmp_gt_i32_e64 s20, 0, v32
	v_cmp_gt_i32_e64 s21, 0, v33
	v_add_co_u32 v13, s65, v34, -1
	v_cmp_gt_i32_e64 s22, 0, v35
	v_cmp_gt_i32_e64 s23, 0, v36
	v_cmp_gt_i32_e64 s24, 0, v37
	v_cmp_gt_i32_e64 s25, 0, v38
	v_cmp_gt_i32_e64 s26, 0, v39
	v_cmp_gt_i32_e64 s27, 0, v40
	v_cmp_gt_i32_e64 s28, 0, v41
	v_add_co_u32 v14, s66, v42, -1
	v_cmp_gt_i32_e64 s29, 0, v43
	v_cmp_gt_i32_e64 s30, 0, v44
	v_cmp_gt_i32_e64 s31, 0, v45
	v_cmp_gt_i32_e64 s33, 0, v46
	v_cmp_gt_i32_e64 s34, 0, v47
	v_cmp_gt_i32_e64 s35, 0, v48
	v_cmp_gt_i32_e64 s36, 0, v49
	v_add_co_u32 v15, s67, v50, -1
	v_cmp_gt_i32_e64 s37, 0, v51
	v_cmp_gt_i32_e64 s38, 0, v52
	v_cmp_gt_i32_e64 s39, 0, v53
	v_cmp_gt_i32_e64 s40, 0, v54
	v_cmp_gt_i32_e64 s41, 0, v55
	v_cmp_gt_i32_e64 s42, 0, v56
	v_cmp_gt_i32_e64 s43, 0, v57
	v_add_co_u32 v16, s68, v58, -1
	v_cmp_gt_i32_e64 s44, 0, v59
	v_cmp_gt_i32_e64 s45, 0, v60
	v_cmp_gt_i32_e64 s46, 0, v61
	v_cmp_gt_i32_e64 s47, 0, v62
	v_cmp_gt_i32_e64 s48, 0, v63
	v_cmp_gt_i32_e64 s49, 0, v64
	v_cmp_gt_i32_e64 s50, 0, v65
	v_add_co_u32 v17, s69, v66, -1
	v_ashrrev_i32_e32 v18, 31, v71
	v_ashrrev_i32_e32 v19, 31, v72
	;; [unrolled: 1-line block ×56, first 2 shown]
	v_lshlrev_b32_e32 v74, 2, v74
	s_branch .LBB4_2
.LBB4_1:                                ;   in Loop: Header=BB4_2 Depth=1
	s_or_b32 exec_lo, exec_lo, s59
	s_add_i32 s70, s70, -1
	s_waitcnt lgkmcnt(0)
	s_cmp_eq_u32 s70, 0
	s_barrier
	buffer_gl0_inv
	s_cbranch_scc1 .LBB4_20
.LBB4_2:                                ; =>This Inner Loop Header: Depth=1
	s_and_saveexec_b32 s58, vcc_lo
	s_cbranch_execz .LBB4_4
; %bb.3:                                ;   in Loop: Header=BB4_2 Depth=1
	ds_store_b32 v1, v2
.LBB4_4:                                ;   in Loop: Header=BB4_2 Depth=1
	s_or_b32 exec_lo, exec_lo, s58
	v_cndmask_b32_e64 v75, 0, 1, s60
	v_cndmask_b32_e64 v76, 0, 1, s0
	;; [unrolled: 1-line block ×4, first 2 shown]
	s_waitcnt lgkmcnt(0)
	v_cmp_ne_u32_e64 s58, 0, v75
	v_cndmask_b32_e64 v75, 0, 1, s1
	v_cmp_ne_u32_e64 s59, 0, v76
	s_barrier
	buffer_gl0_inv
	v_xor_b32_e32 v76, s58, v10
	v_cmp_ne_u32_e64 s58, 0, v75
	v_xor_b32_e32 v75, s59, v18
	v_cmp_ne_u32_e64 s59, 0, v77
	s_delay_alu instid0(VALU_DEP_4) | instskip(NEXT) | instid1(VALU_DEP_4)
	v_and_b32_e32 v76, exec_lo, v76
	v_xor_b32_e32 v77, s58, v19
	v_cmp_ne_u32_e64 s58, 0, v78
	s_delay_alu instid0(VALU_DEP_4) | instskip(NEXT) | instid1(VALU_DEP_4)
	v_xor_b32_e32 v78, s59, v20
	v_and_b32_e32 v75, v76, v75
	v_cndmask_b32_e64 v76, 0, 1, s4
	s_delay_alu instid0(VALU_DEP_2) | instskip(SKIP_1) | instid1(VALU_DEP_3)
	v_and_b32_e32 v75, v75, v77
	v_cndmask_b32_e64 v77, 0, 1, s5
	v_cmp_ne_u32_e64 s59, 0, v76
	v_xor_b32_e32 v76, s58, v21
	s_delay_alu instid0(VALU_DEP_4) | instskip(NEXT) | instid1(VALU_DEP_4)
	v_and_b32_e32 v75, v75, v78
	v_cmp_ne_u32_e64 s58, 0, v77
	s_delay_alu instid0(VALU_DEP_4) | instskip(SKIP_1) | instid1(VALU_DEP_3)
	v_xor_b32_e32 v77, s59, v22
	s_mov_b32 s59, exec_lo
	v_and_b32_e32 v75, v75, v76
	v_cndmask_b32_e64 v76, 0, 1, s6
	v_xor_b32_e32 v78, s58, v23
	s_delay_alu instid0(VALU_DEP_3) | instskip(NEXT) | instid1(VALU_DEP_3)
	v_and_b32_e32 v75, v75, v77
	v_cmp_ne_u32_e64 s58, 0, v76
	s_delay_alu instid0(VALU_DEP_2) | instskip(NEXT) | instid1(VALU_DEP_2)
	v_and_b32_e32 v75, v75, v78
	v_xor_b32_e32 v76, s58, v24
	s_delay_alu instid0(VALU_DEP_1) | instskip(NEXT) | instid1(VALU_DEP_1)
	v_and_b32_e32 v75, v75, v76
	v_mbcnt_lo_u32_b32 v76, v75, 0
	s_delay_alu instid0(VALU_DEP_1)
	v_cmpx_eq_u32_e32 0, v76
	s_cbranch_execz .LBB4_6
; %bb.5:                                ;   in Loop: Header=BB4_2 Depth=1
	v_bcnt_u32_b32 v75, v75, 0
	ds_add_u32 v3, v75
.LBB4_6:                                ;   in Loop: Header=BB4_2 Depth=1
	s_or_b32 exec_lo, exec_lo, s59
	v_cndmask_b32_e64 v75, 0, 1, s61
	v_cndmask_b32_e64 v76, 0, 1, s7
	;; [unrolled: 1-line block ×4, first 2 shown]
	s_delay_alu instid0(VALU_DEP_4) | instskip(SKIP_2) | instid1(VALU_DEP_3)
	v_cmp_ne_u32_e64 s58, 0, v75
	v_cndmask_b32_e64 v75, 0, 1, s8
	v_cmp_ne_u32_e64 s59, 0, v76
	v_xor_b32_e32 v76, s58, v11
	s_delay_alu instid0(VALU_DEP_3) | instskip(NEXT) | instid1(VALU_DEP_3)
	v_cmp_ne_u32_e64 s58, 0, v75
	v_xor_b32_e32 v75, s59, v25
	v_cmp_ne_u32_e64 s59, 0, v77
	s_delay_alu instid0(VALU_DEP_4) | instskip(NEXT) | instid1(VALU_DEP_4)
	v_and_b32_e32 v76, exec_lo, v76
	v_xor_b32_e32 v77, s58, v26
	v_cmp_ne_u32_e64 s58, 0, v78
	s_delay_alu instid0(VALU_DEP_4) | instskip(NEXT) | instid1(VALU_DEP_4)
	v_xor_b32_e32 v78, s59, v27
	v_and_b32_e32 v75, v76, v75
	v_cndmask_b32_e64 v76, 0, 1, s11
	s_delay_alu instid0(VALU_DEP_2) | instskip(SKIP_1) | instid1(VALU_DEP_3)
	v_and_b32_e32 v75, v75, v77
	v_cndmask_b32_e64 v77, 0, 1, s12
	v_cmp_ne_u32_e64 s59, 0, v76
	v_xor_b32_e32 v76, s58, v28
	s_delay_alu instid0(VALU_DEP_4) | instskip(NEXT) | instid1(VALU_DEP_4)
	v_and_b32_e32 v75, v75, v78
	v_cmp_ne_u32_e64 s58, 0, v77
	s_delay_alu instid0(VALU_DEP_4) | instskip(SKIP_1) | instid1(VALU_DEP_3)
	v_xor_b32_e32 v77, s59, v29
	s_mov_b32 s59, exec_lo
	v_and_b32_e32 v75, v75, v76
	v_cndmask_b32_e64 v76, 0, 1, s13
	v_xor_b32_e32 v78, s58, v30
	s_delay_alu instid0(VALU_DEP_3) | instskip(NEXT) | instid1(VALU_DEP_3)
	v_and_b32_e32 v75, v75, v77
	v_cmp_ne_u32_e64 s58, 0, v76
	s_delay_alu instid0(VALU_DEP_2) | instskip(NEXT) | instid1(VALU_DEP_2)
	v_and_b32_e32 v75, v75, v78
	v_xor_b32_e32 v76, s58, v31
	s_delay_alu instid0(VALU_DEP_1) | instskip(NEXT) | instid1(VALU_DEP_1)
	v_and_b32_e32 v75, v75, v76
	v_mbcnt_lo_u32_b32 v76, v75, 0
	s_delay_alu instid0(VALU_DEP_1)
	v_cmpx_eq_u32_e32 0, v76
	s_cbranch_execz .LBB4_8
; %bb.7:                                ;   in Loop: Header=BB4_2 Depth=1
	v_bcnt_u32_b32 v75, v75, 0
	ds_add_u32 v4, v75
.LBB4_8:                                ;   in Loop: Header=BB4_2 Depth=1
	s_or_b32 exec_lo, exec_lo, s59
	v_cndmask_b32_e64 v75, 0, 1, s64
	v_cndmask_b32_e64 v76, 0, 1, s14
	v_cndmask_b32_e64 v77, 0, 1, s17
	v_cndmask_b32_e64 v78, 0, 1, s18
	s_delay_alu instid0(VALU_DEP_4) | instskip(SKIP_2) | instid1(VALU_DEP_3)
	v_cmp_ne_u32_e64 s58, 0, v75
	v_cndmask_b32_e64 v75, 0, 1, s16
	v_cmp_ne_u32_e64 s59, 0, v76
	v_xor_b32_e32 v76, s58, v12
	s_delay_alu instid0(VALU_DEP_3) | instskip(NEXT) | instid1(VALU_DEP_3)
	v_cmp_ne_u32_e64 s58, 0, v75
	v_xor_b32_e32 v75, s59, v32
	v_cmp_ne_u32_e64 s59, 0, v77
	s_delay_alu instid0(VALU_DEP_4) | instskip(NEXT) | instid1(VALU_DEP_4)
	v_and_b32_e32 v76, exec_lo, v76
	v_xor_b32_e32 v77, s58, v33
	v_cmp_ne_u32_e64 s58, 0, v78
	s_delay_alu instid0(VALU_DEP_4) | instskip(NEXT) | instid1(VALU_DEP_4)
	v_xor_b32_e32 v78, s59, v34
	v_and_b32_e32 v75, v76, v75
	v_cndmask_b32_e64 v76, 0, 1, s19
	s_delay_alu instid0(VALU_DEP_2) | instskip(SKIP_1) | instid1(VALU_DEP_3)
	v_and_b32_e32 v75, v75, v77
	v_cndmask_b32_e64 v77, 0, 1, s20
	v_cmp_ne_u32_e64 s59, 0, v76
	v_xor_b32_e32 v76, s58, v35
	s_delay_alu instid0(VALU_DEP_4) | instskip(NEXT) | instid1(VALU_DEP_4)
	v_and_b32_e32 v75, v75, v78
	v_cmp_ne_u32_e64 s58, 0, v77
	s_delay_alu instid0(VALU_DEP_4) | instskip(SKIP_1) | instid1(VALU_DEP_3)
	v_xor_b32_e32 v77, s59, v36
	s_mov_b32 s59, exec_lo
	v_and_b32_e32 v75, v75, v76
	v_cndmask_b32_e64 v76, 0, 1, s21
	v_xor_b32_e32 v78, s58, v37
	s_delay_alu instid0(VALU_DEP_3) | instskip(NEXT) | instid1(VALU_DEP_3)
	v_and_b32_e32 v75, v75, v77
	v_cmp_ne_u32_e64 s58, 0, v76
	s_delay_alu instid0(VALU_DEP_2) | instskip(NEXT) | instid1(VALU_DEP_2)
	v_and_b32_e32 v75, v75, v78
	v_xor_b32_e32 v76, s58, v38
	s_delay_alu instid0(VALU_DEP_1) | instskip(NEXT) | instid1(VALU_DEP_1)
	v_and_b32_e32 v75, v75, v76
	v_mbcnt_lo_u32_b32 v76, v75, 0
	s_delay_alu instid0(VALU_DEP_1)
	v_cmpx_eq_u32_e32 0, v76
	s_cbranch_execz .LBB4_10
; %bb.9:                                ;   in Loop: Header=BB4_2 Depth=1
	v_bcnt_u32_b32 v75, v75, 0
	ds_add_u32 v5, v75
.LBB4_10:                               ;   in Loop: Header=BB4_2 Depth=1
	s_or_b32 exec_lo, exec_lo, s59
	v_cndmask_b32_e64 v75, 0, 1, s65
	v_cndmask_b32_e64 v76, 0, 1, s22
	v_cndmask_b32_e64 v77, 0, 1, s24
	v_cndmask_b32_e64 v78, 0, 1, s25
	s_delay_alu instid0(VALU_DEP_4) | instskip(SKIP_2) | instid1(VALU_DEP_3)
	v_cmp_ne_u32_e64 s58, 0, v75
	v_cndmask_b32_e64 v75, 0, 1, s23
	v_cmp_ne_u32_e64 s59, 0, v76
	v_xor_b32_e32 v76, s58, v13
	s_delay_alu instid0(VALU_DEP_3) | instskip(NEXT) | instid1(VALU_DEP_3)
	v_cmp_ne_u32_e64 s58, 0, v75
	v_xor_b32_e32 v75, s59, v39
	v_cmp_ne_u32_e64 s59, 0, v77
	s_delay_alu instid0(VALU_DEP_4) | instskip(NEXT) | instid1(VALU_DEP_4)
	v_and_b32_e32 v76, exec_lo, v76
	v_xor_b32_e32 v77, s58, v40
	v_cmp_ne_u32_e64 s58, 0, v78
	s_delay_alu instid0(VALU_DEP_4) | instskip(NEXT) | instid1(VALU_DEP_4)
	v_xor_b32_e32 v78, s59, v41
	v_and_b32_e32 v75, v76, v75
	v_cndmask_b32_e64 v76, 0, 1, s26
	s_delay_alu instid0(VALU_DEP_2) | instskip(SKIP_1) | instid1(VALU_DEP_3)
	v_and_b32_e32 v75, v75, v77
	v_cndmask_b32_e64 v77, 0, 1, s27
	v_cmp_ne_u32_e64 s59, 0, v76
	v_xor_b32_e32 v76, s58, v42
	s_delay_alu instid0(VALU_DEP_4) | instskip(NEXT) | instid1(VALU_DEP_4)
	v_and_b32_e32 v75, v75, v78
	v_cmp_ne_u32_e64 s58, 0, v77
	s_delay_alu instid0(VALU_DEP_4) | instskip(SKIP_1) | instid1(VALU_DEP_3)
	v_xor_b32_e32 v77, s59, v43
	s_mov_b32 s59, exec_lo
	v_and_b32_e32 v75, v75, v76
	v_cndmask_b32_e64 v76, 0, 1, s28
	v_xor_b32_e32 v78, s58, v44
	s_delay_alu instid0(VALU_DEP_3) | instskip(NEXT) | instid1(VALU_DEP_3)
	v_and_b32_e32 v75, v75, v77
	v_cmp_ne_u32_e64 s58, 0, v76
	s_delay_alu instid0(VALU_DEP_2) | instskip(NEXT) | instid1(VALU_DEP_2)
	v_and_b32_e32 v75, v75, v78
	v_xor_b32_e32 v76, s58, v45
	s_delay_alu instid0(VALU_DEP_1) | instskip(NEXT) | instid1(VALU_DEP_1)
	v_and_b32_e32 v75, v75, v76
	v_mbcnt_lo_u32_b32 v76, v75, 0
	s_delay_alu instid0(VALU_DEP_1)
	v_cmpx_eq_u32_e32 0, v76
	s_cbranch_execz .LBB4_12
; %bb.11:                               ;   in Loop: Header=BB4_2 Depth=1
	v_bcnt_u32_b32 v75, v75, 0
	ds_add_u32 v6, v75
.LBB4_12:                               ;   in Loop: Header=BB4_2 Depth=1
	s_or_b32 exec_lo, exec_lo, s59
	v_cndmask_b32_e64 v75, 0, 1, s66
	v_cndmask_b32_e64 v76, 0, 1, s29
	v_cndmask_b32_e64 v77, 0, 1, s31
	v_cndmask_b32_e64 v78, 0, 1, s33
	s_delay_alu instid0(VALU_DEP_4) | instskip(SKIP_2) | instid1(VALU_DEP_3)
	v_cmp_ne_u32_e64 s58, 0, v75
	v_cndmask_b32_e64 v75, 0, 1, s30
	v_cmp_ne_u32_e64 s59, 0, v76
	v_xor_b32_e32 v76, s58, v14
	s_delay_alu instid0(VALU_DEP_3) | instskip(NEXT) | instid1(VALU_DEP_3)
	v_cmp_ne_u32_e64 s58, 0, v75
	v_xor_b32_e32 v75, s59, v46
	v_cmp_ne_u32_e64 s59, 0, v77
	s_delay_alu instid0(VALU_DEP_4) | instskip(NEXT) | instid1(VALU_DEP_4)
	v_and_b32_e32 v76, exec_lo, v76
	v_xor_b32_e32 v77, s58, v47
	v_cmp_ne_u32_e64 s58, 0, v78
	s_delay_alu instid0(VALU_DEP_4) | instskip(NEXT) | instid1(VALU_DEP_4)
	v_xor_b32_e32 v78, s59, v48
	v_and_b32_e32 v75, v76, v75
	v_cndmask_b32_e64 v76, 0, 1, s34
	s_delay_alu instid0(VALU_DEP_2) | instskip(SKIP_1) | instid1(VALU_DEP_3)
	v_and_b32_e32 v75, v75, v77
	v_cndmask_b32_e64 v77, 0, 1, s35
	v_cmp_ne_u32_e64 s59, 0, v76
	v_xor_b32_e32 v76, s58, v49
	s_delay_alu instid0(VALU_DEP_4) | instskip(NEXT) | instid1(VALU_DEP_4)
	v_and_b32_e32 v75, v75, v78
	v_cmp_ne_u32_e64 s58, 0, v77
	s_delay_alu instid0(VALU_DEP_4) | instskip(SKIP_1) | instid1(VALU_DEP_3)
	v_xor_b32_e32 v77, s59, v50
	s_mov_b32 s59, exec_lo
	v_and_b32_e32 v75, v75, v76
	v_cndmask_b32_e64 v76, 0, 1, s36
	v_xor_b32_e32 v78, s58, v51
	s_delay_alu instid0(VALU_DEP_3) | instskip(NEXT) | instid1(VALU_DEP_3)
	v_and_b32_e32 v75, v75, v77
	v_cmp_ne_u32_e64 s58, 0, v76
	s_delay_alu instid0(VALU_DEP_2) | instskip(NEXT) | instid1(VALU_DEP_2)
	v_and_b32_e32 v75, v75, v78
	v_xor_b32_e32 v76, s58, v52
	s_delay_alu instid0(VALU_DEP_1) | instskip(NEXT) | instid1(VALU_DEP_1)
	v_and_b32_e32 v75, v75, v76
	v_mbcnt_lo_u32_b32 v76, v75, 0
	s_delay_alu instid0(VALU_DEP_1)
	v_cmpx_eq_u32_e32 0, v76
	s_cbranch_execz .LBB4_14
; %bb.13:                               ;   in Loop: Header=BB4_2 Depth=1
	v_bcnt_u32_b32 v75, v75, 0
	ds_add_u32 v7, v75
.LBB4_14:                               ;   in Loop: Header=BB4_2 Depth=1
	;; [unrolled: 52-line block ×4, first 2 shown]
	s_or_b32 exec_lo, exec_lo, s59
	v_cndmask_b32_e64 v75, 0, 1, s69
	v_cndmask_b32_e64 v76, 0, 1, s51
	;; [unrolled: 1-line block ×4, first 2 shown]
	s_delay_alu instid0(VALU_DEP_4) | instskip(SKIP_2) | instid1(VALU_DEP_3)
	v_cmp_ne_u32_e64 s58, 0, v75
	v_cndmask_b32_e64 v75, 0, 1, s52
	v_cmp_ne_u32_e64 s59, 0, v76
	v_xor_b32_e32 v76, s58, v17
	s_delay_alu instid0(VALU_DEP_3) | instskip(NEXT) | instid1(VALU_DEP_3)
	v_cmp_ne_u32_e64 s58, 0, v75
	v_xor_b32_e32 v75, s59, v67
	v_cmp_ne_u32_e64 s59, 0, v77
	s_delay_alu instid0(VALU_DEP_4) | instskip(NEXT) | instid1(VALU_DEP_4)
	v_and_b32_e32 v76, exec_lo, v76
	v_xor_b32_e32 v77, s58, v68
	v_cmp_ne_u32_e64 s58, 0, v78
	s_delay_alu instid0(VALU_DEP_4) | instskip(NEXT) | instid1(VALU_DEP_4)
	v_xor_b32_e32 v78, s59, v69
	v_and_b32_e32 v75, v76, v75
	v_cndmask_b32_e64 v76, 0, 1, s55
	s_delay_alu instid0(VALU_DEP_2) | instskip(SKIP_1) | instid1(VALU_DEP_3)
	v_and_b32_e32 v75, v75, v77
	v_cndmask_b32_e64 v77, 0, 1, s56
	v_cmp_ne_u32_e64 s59, 0, v76
	v_xor_b32_e32 v76, s58, v70
	s_delay_alu instid0(VALU_DEP_4) | instskip(NEXT) | instid1(VALU_DEP_4)
	v_and_b32_e32 v75, v75, v78
	v_cmp_ne_u32_e64 s58, 0, v77
	s_delay_alu instid0(VALU_DEP_4) | instskip(SKIP_1) | instid1(VALU_DEP_3)
	v_xor_b32_e32 v77, s59, v71
	s_mov_b32 s59, exec_lo
	v_and_b32_e32 v75, v75, v76
	v_cndmask_b32_e64 v76, 0, 1, s57
	v_xor_b32_e32 v78, s58, v72
	s_delay_alu instid0(VALU_DEP_3) | instskip(NEXT) | instid1(VALU_DEP_3)
	v_and_b32_e32 v75, v75, v77
	v_cmp_ne_u32_e64 s58, 0, v76
	s_delay_alu instid0(VALU_DEP_2) | instskip(NEXT) | instid1(VALU_DEP_2)
	v_and_b32_e32 v75, v75, v78
	v_xor_b32_e32 v76, s58, v73
	s_delay_alu instid0(VALU_DEP_1) | instskip(NEXT) | instid1(VALU_DEP_1)
	v_and_b32_e32 v75, v75, v76
	v_mbcnt_lo_u32_b32 v76, v75, 0
	s_delay_alu instid0(VALU_DEP_1)
	v_cmpx_eq_u32_e32 0, v76
	s_cbranch_execz .LBB4_1
; %bb.19:                               ;   in Loop: Header=BB4_2 Depth=1
	v_bcnt_u32_b32 v75, v75, 0
	ds_add_u32 v74, v75
	s_branch .LBB4_1
.LBB4_20:
	s_and_saveexec_b32 s0, vcc_lo
	s_cbranch_execz .LBB4_22
; %bb.21:
	ds_load_b32 v2, v1
	v_lshl_or_b32 v0, s15, 8, v0
	v_mov_b32_e32 v1, 0
	s_delay_alu instid0(VALU_DEP_1) | instskip(NEXT) | instid1(VALU_DEP_1)
	v_lshlrev_b64 v[0:1], 2, v[0:1]
	v_add_co_u32 v0, vcc_lo, s62, v0
	s_delay_alu instid0(VALU_DEP_2)
	v_add_co_ci_u32_e32 v1, vcc_lo, s63, v1, vcc_lo
	s_waitcnt lgkmcnt(0)
	global_store_b32 v[0:1], v2, off
.LBB4_22:
	s_nop 0
	s_sendmsg sendmsg(MSG_DEALLOC_VGPRS)
	s_endpgm
	.section	.rodata,"a",@progbits
	.p2align	6, 0x0
	.amdhsa_kernel _Z6kernelI9histogramILN6hipcub23BlockHistogramAlgorithmE0EEiLj256ELj8ELj256ELj100EEvPKT0_PS4_
		.amdhsa_group_segment_fixed_size 1024
		.amdhsa_private_segment_fixed_size 0
		.amdhsa_kernarg_size 16
		.amdhsa_user_sgpr_count 15
		.amdhsa_user_sgpr_dispatch_ptr 0
		.amdhsa_user_sgpr_queue_ptr 0
		.amdhsa_user_sgpr_kernarg_segment_ptr 1
		.amdhsa_user_sgpr_dispatch_id 0
		.amdhsa_user_sgpr_private_segment_size 0
		.amdhsa_wavefront_size32 1
		.amdhsa_uses_dynamic_stack 0
		.amdhsa_enable_private_segment 0
		.amdhsa_system_sgpr_workgroup_id_x 1
		.amdhsa_system_sgpr_workgroup_id_y 0
		.amdhsa_system_sgpr_workgroup_id_z 0
		.amdhsa_system_sgpr_workgroup_info 0
		.amdhsa_system_vgpr_workitem_id 0
		.amdhsa_next_free_vgpr 124
		.amdhsa_next_free_sgpr 71
		.amdhsa_reserve_vcc 1
		.amdhsa_float_round_mode_32 0
		.amdhsa_float_round_mode_16_64 0
		.amdhsa_float_denorm_mode_32 3
		.amdhsa_float_denorm_mode_16_64 3
		.amdhsa_dx10_clamp 1
		.amdhsa_ieee_mode 1
		.amdhsa_fp16_overflow 0
		.amdhsa_workgroup_processor_mode 1
		.amdhsa_memory_ordered 1
		.amdhsa_forward_progress 0
		.amdhsa_shared_vgpr_count 0
		.amdhsa_exception_fp_ieee_invalid_op 0
		.amdhsa_exception_fp_denorm_src 0
		.amdhsa_exception_fp_ieee_div_zero 0
		.amdhsa_exception_fp_ieee_overflow 0
		.amdhsa_exception_fp_ieee_underflow 0
		.amdhsa_exception_fp_ieee_inexact 0
		.amdhsa_exception_int_div_zero 0
	.end_amdhsa_kernel
	.section	.text._Z6kernelI9histogramILN6hipcub23BlockHistogramAlgorithmE0EEiLj256ELj8ELj256ELj100EEvPKT0_PS4_,"axG",@progbits,_Z6kernelI9histogramILN6hipcub23BlockHistogramAlgorithmE0EEiLj256ELj8ELj256ELj100EEvPKT0_PS4_,comdat
.Lfunc_end4:
	.size	_Z6kernelI9histogramILN6hipcub23BlockHistogramAlgorithmE0EEiLj256ELj8ELj256ELj100EEvPKT0_PS4_, .Lfunc_end4-_Z6kernelI9histogramILN6hipcub23BlockHistogramAlgorithmE0EEiLj256ELj8ELj256ELj100EEvPKT0_PS4_
                                        ; -- End function
	.section	.AMDGPU.csdata,"",@progbits
; Kernel info:
; codeLenInByte = 3700
; NumSgprs: 73
; NumVgprs: 124
; ScratchSize: 0
; MemoryBound: 0
; FloatMode: 240
; IeeeMode: 1
; LDSByteSize: 1024 bytes/workgroup (compile time only)
; SGPRBlocks: 9
; VGPRBlocks: 15
; NumSGPRsForWavesPerEU: 73
; NumVGPRsForWavesPerEU: 124
; Occupancy: 10
; WaveLimiterHint : 0
; COMPUTE_PGM_RSRC2:SCRATCH_EN: 0
; COMPUTE_PGM_RSRC2:USER_SGPR: 15
; COMPUTE_PGM_RSRC2:TRAP_HANDLER: 0
; COMPUTE_PGM_RSRC2:TGID_X_EN: 1
; COMPUTE_PGM_RSRC2:TGID_Y_EN: 0
; COMPUTE_PGM_RSRC2:TGID_Z_EN: 0
; COMPUTE_PGM_RSRC2:TIDIG_COMP_CNT: 0
	.section	.text._Z6kernelI9histogramILN6hipcub23BlockHistogramAlgorithmE0EEiLj256ELj16ELj256ELj100EEvPKT0_PS4_,"axG",@progbits,_Z6kernelI9histogramILN6hipcub23BlockHistogramAlgorithmE0EEiLj256ELj16ELj256ELj100EEvPKT0_PS4_,comdat
	.protected	_Z6kernelI9histogramILN6hipcub23BlockHistogramAlgorithmE0EEiLj256ELj16ELj256ELj100EEvPKT0_PS4_ ; -- Begin function _Z6kernelI9histogramILN6hipcub23BlockHistogramAlgorithmE0EEiLj256ELj16ELj256ELj100EEvPKT0_PS4_
	.globl	_Z6kernelI9histogramILN6hipcub23BlockHistogramAlgorithmE0EEiLj256ELj16ELj256ELj100EEvPKT0_PS4_
	.p2align	8
	.type	_Z6kernelI9histogramILN6hipcub23BlockHistogramAlgorithmE0EEiLj256ELj16ELj256ELj100EEvPKT0_PS4_,@function
_Z6kernelI9histogramILN6hipcub23BlockHistogramAlgorithmE0EEiLj256ELj16ELj256ELj100EEvPKT0_PS4_: ; @_Z6kernelI9histogramILN6hipcub23BlockHistogramAlgorithmE0EEiLj256ELj16ELj256ELj100EEvPKT0_PS4_
; %bb.0:
	s_load_b128 s[0:3], s[0:1], 0x0
	v_dual_mov_b32 v2, 0 :: v_dual_lshlrev_b32 v1, 4, v0
                                        ; implicit-def: $vgpr164 : SGPR spill to VGPR lane
	v_cmp_gt_u32_e64 s6, 0x100, v0
	v_writelane_b32 v164, s15, 0
	s_movk_i32 s25, 0x64
	s_delay_alu instid0(VALU_DEP_3) | instskip(NEXT) | instid1(VALU_DEP_1)
	v_lshl_or_b32 v1, s15, 12, v1
	v_lshlrev_b64 v[3:4], 2, v[1:2]
	s_waitcnt lgkmcnt(0)
	s_delay_alu instid0(VALU_DEP_1) | instskip(SKIP_1) | instid1(VALU_DEP_3)
	v_add_co_u32 v14, vcc_lo, s0, v3
	v_writelane_b32 v164, s0, 1
	v_add_co_ci_u32_e32 v15, vcc_lo, s1, v4, vcc_lo
	s_clause 0x1
	global_load_b128 v[3:6], v[14:15], off
	global_load_b128 v[7:10], v[14:15], off offset:16
	v_writelane_b32 v164, s1, 2
	v_writelane_b32 v164, s2, 3
	;; [unrolled: 1-line block ×3, first 2 shown]
	s_waitcnt vmcnt(1)
	v_and_b32_e32 v131, 1, v3
	v_lshlrev_b32_e32 v18, 30, v3
	v_lshlrev_b32_e32 v19, 29, v3
	v_lshlrev_b32_e32 v20, 28, v3
	v_lshlrev_b32_e32 v21, 27, v3
	v_lshlrev_b32_e32 v22, 26, v3
	v_lshlrev_b32_e32 v23, 25, v3
	v_lshlrev_b32_e32 v24, 24, v3
	v_lshlrev_b32_e32 v1, 2, v3
	v_and_b32_e32 v132, 1, v4
	v_lshlrev_b32_e32 v25, 30, v4
	v_lshlrev_b32_e32 v26, 29, v4
	v_lshlrev_b32_e32 v27, 28, v4
	v_lshlrev_b32_e32 v28, 27, v4
	v_lshlrev_b32_e32 v29, 26, v4
	v_lshlrev_b32_e32 v30, 25, v4
	v_lshlrev_b32_e32 v31, 24, v4
	v_lshlrev_b32_e32 v3, 2, v4
	;; [unrolled: 9-line block ×4, first 2 shown]
	s_waitcnt vmcnt(0)
	v_and_b32_e32 v135, 1, v7
	v_lshlrev_b32_e32 v46, 30, v7
	v_lshlrev_b32_e32 v47, 29, v7
	v_lshlrev_b32_e32 v48, 28, v7
	v_lshlrev_b32_e32 v49, 27, v7
	v_lshlrev_b32_e32 v50, 26, v7
	v_lshlrev_b32_e32 v51, 25, v7
	v_lshlrev_b32_e32 v52, 24, v7
	v_lshlrev_b32_e32 v6, 2, v7
	v_and_b32_e32 v136, 1, v8
	v_lshlrev_b32_e32 v53, 30, v8
	v_lshlrev_b32_e32 v54, 29, v8
	v_lshlrev_b32_e32 v55, 28, v8
	v_lshlrev_b32_e32 v56, 27, v8
	v_lshlrev_b32_e32 v57, 26, v8
	v_lshlrev_b32_e32 v58, 25, v8
	v_lshlrev_b32_e32 v59, 24, v8
	v_lshlrev_b32_e32 v7, 2, v8
	;; [unrolled: 9-line block ×4, first 2 shown]
	s_clause 0x1
	global_load_b128 v[10:13], v[14:15], off offset:32
	global_load_b128 v[14:17], v[14:15], off offset:48
	v_cmp_gt_i32_e64 s0, 0, v18
	v_not_b32_e32 v18, v18
	v_cmp_gt_i32_e64 s26, 0, v44
	v_not_b32_e32 v44, v44
	v_cmp_gt_i32_e64 s27, 0, v45
	v_writelane_b32 v164, s0, 5
	v_cmp_gt_i32_e64 s0, 0, v19
	v_not_b32_e32 v19, v19
	v_not_b32_e32 v45, v45
	v_cmp_gt_i32_e64 s28, 0, v46
	v_not_b32_e32 v46, v46
	v_writelane_b32 v164, s0, 6
	v_cmp_gt_i32_e64 s0, 0, v20
	v_not_b32_e32 v20, v20
	v_cmp_gt_i32_e64 s29, 0, v47
	v_not_b32_e32 v47, v47
	v_cmp_gt_i32_e64 s30, 0, v48
	v_writelane_b32 v164, s0, 7
	v_cmp_gt_i32_e64 s0, 0, v21
	v_not_b32_e32 v21, v21
	v_not_b32_e32 v48, v48
	v_cmp_gt_i32_e64 s31, 0, v49
	v_not_b32_e32 v49, v49
	v_writelane_b32 v164, s0, 8
	;; [unrolled: 12-line block ×10, first 2 shown]
	v_cmp_gt_i32_e64 s0, 0, v38
	v_not_b32_e32 v38, v38
	v_ashrrev_i32_e32 v18, 31, v18
	v_ashrrev_i32_e32 v19, 31, v19
	v_ashrrev_i32_e32 v20, 31, v20
	v_writelane_b32 v164, s0, 25
	v_cmp_gt_i32_e64 s0, 0, v39
	v_not_b32_e32 v39, v39
	v_ashrrev_i32_e32 v21, 31, v21
	v_ashrrev_i32_e32 v22, 31, v22
	v_ashrrev_i32_e32 v23, 31, v23
	v_writelane_b32 v164, s0, 26
	;; [unrolled: 6-line block ×6, first 2 shown]
	v_ashrrev_i32_e32 v36, 31, v36
	v_ashrrev_i32_e32 v37, 31, v37
	;; [unrolled: 1-line block ×38, first 2 shown]
	v_add_co_u32 v131, s8, v131, -1
	v_add_co_u32 v132, s9, v132, -1
	;; [unrolled: 1-line block ×8, first 2 shown]
	s_waitcnt vmcnt(1)
	v_lshlrev_b32_e32 v90, 30, v12
	s_waitcnt vmcnt(0)
	v_lshlrev_b32_e32 v156, 24, v16
	v_lshlrev_b32_e32 v157, 30, v17
	;; [unrolled: 1-line block ×5, first 2 shown]
	v_not_b32_e32 v122, v156
	v_lshlrev_b32_e32 v92, 28, v12
	v_lshlrev_b32_e32 v89, 27, v12
	;; [unrolled: 1-line block ×4, first 2 shown]
	v_ashrrev_i32_e32 v123, 31, v122
	v_not_b32_e32 v122, v157
	v_lshlrev_b32_e32 v96, 25, v12
	v_lshlrev_b32_e32 v97, 30, v13
	;; [unrolled: 1-line block ×4, first 2 shown]
	v_ashrrev_i32_e32 v124, 31, v122
	v_not_b32_e32 v122, v158
	v_lshlrev_b32_e32 v161, 26, v17
	v_cmp_gt_i32_e64 s71, 0, v90
	v_not_b32_e32 v90, v90
	v_cmp_gt_i32_e64 s72, 0, v91
	v_ashrrev_i32_e32 v125, 31, v122
	v_not_b32_e32 v122, v159
	v_not_b32_e32 v91, v91
	v_cmp_gt_i32_e64 s73, 0, v92
	v_not_b32_e32 v92, v92
	v_not_b32_e32 v113, v89
	v_not_b32_e32 v114, v88
	v_ashrrev_i32_e32 v126, 31, v122
	v_not_b32_e32 v122, v160
	v_lshlrev_b32_e32 v102, 27, v13
	v_lshlrev_b32_e32 v100, 26, v13
	;; [unrolled: 1-line block ×6, first 2 shown]
	v_cmp_gt_i32_e64 s74, 0, v89
	v_cmp_gt_i32_e64 s75, 0, v88
	v_ashrrev_i32_e32 v88, 31, v90
	v_ashrrev_i32_e32 v89, 31, v91
	;; [unrolled: 1-line block ×5, first 2 shown]
	v_cmp_gt_i32_e64 s76, 0, v96
	v_not_b32_e32 v96, v96
	v_cmp_gt_i32_e64 s78, 0, v97
	v_not_b32_e32 v97, v97
	v_not_b32_e32 v113, v95
	;; [unrolled: 1-line block ×3, first 2 shown]
	v_ashrrev_i32_e32 v127, 31, v122
	v_not_b32_e32 v122, v161
	v_lshlrev_b32_e32 v74, 30, v10
	v_lshlrev_b32_e32 v75, 29, v10
	;; [unrolled: 1-line block ×35, first 2 shown]
	v_cmp_gt_i32_e64 s79, 0, v95
	v_cmp_gt_i32_e64 s80, 0, v93
	v_ashrrev_i32_e32 v93, 31, v96
	v_ashrrev_i32_e32 v95, 31, v97
	;; [unrolled: 1-line block ×4, first 2 shown]
	v_cmp_gt_i32_e64 s81, 0, v102
	v_not_b32_e32 v102, v102
	v_cmp_gt_i32_e64 s82, 0, v100
	v_not_b32_e32 v100, v100
	v_not_b32_e32 v113, v99
	;; [unrolled: 1-line block ×4, first 2 shown]
	v_ashrrev_i32_e32 v128, 31, v122
	v_not_b32_e32 v122, v162
	v_and_b32_e32 v139, 1, v10
	v_and_b32_e32 v140, 1, v11
	;; [unrolled: 1-line block ×8, first 2 shown]
	v_cmp_gt_i32_e64 s57, 0, v74
	v_not_b32_e32 v74, v74
	v_cmp_gt_i32_e64 s58, 0, v75
	v_not_b32_e32 v75, v75
	;; [unrolled: 2-line block ×15, first 2 shown]
	v_cmp_gt_i32_e64 s83, 0, v99
	v_cmp_gt_i32_e64 s84, 0, v98
	;; [unrolled: 1-line block ×3, first 2 shown]
	v_ashrrev_i32_e32 v98, 31, v102
	v_ashrrev_i32_e32 v99, 31, v100
	;; [unrolled: 1-line block ×5, first 2 shown]
	v_cmp_gt_i32_e64 s86, 0, v103
	v_not_b32_e32 v103, v103
	v_cmp_gt_i32_e64 s87, 0, v104
	v_not_b32_e32 v104, v104
	;; [unrolled: 2-line block ×10, first 2 shown]
	v_not_b32_e32 v113, v146
	v_not_b32_e32 v114, v147
	;; [unrolled: 1-line block ×9, first 2 shown]
	v_ashrrev_i32_e32 v129, 31, v122
	v_not_b32_e32 v122, v163
	v_lshlrev_b32_e32 v10, 2, v10
	v_lshlrev_b32_e32 v11, 2, v11
	;; [unrolled: 1-line block ×8, first 2 shown]
	v_ashrrev_i32_e32 v74, 31, v74
	v_ashrrev_i32_e32 v75, 31, v75
	;; [unrolled: 1-line block ×35, first 2 shown]
	v_lshlrev_b32_e32 v122, 2, v0
	v_cmp_gt_i32_e64 s96, 0, v146
	v_cmp_gt_i32_e64 s97, 0, v147
	;; [unrolled: 1-line block ×9, first 2 shown]
	v_cmp_gt_i32_e64 vcc_hi, 0, v156
	v_cmp_gt_i32_e64 s15, 0, v157
	v_cmp_gt_i32_e64 s0, 0, v158
	;; [unrolled: 1-line block ×7, first 2 shown]
	v_add_co_u32 v139, s17, v139, -1
	v_add_co_u32 v140, s18, v140, -1
	;; [unrolled: 1-line block ×8, first 2 shown]
	s_branch .LBB5_2
.LBB5_1:                                ;   in Loop: Header=BB5_2 Depth=1
	s_or_b32 exec_lo, exec_lo, s7
	s_add_i32 s25, s25, -1
	s_waitcnt lgkmcnt(0)
	s_cmp_eq_u32 s25, 0
	s_barrier
	buffer_gl0_inv
	s_cbranch_scc1 .LBB5_36
.LBB5_2:                                ; =>This Inner Loop Header: Depth=1
	s_and_saveexec_b32 s7, s6
	s_cbranch_execz .LBB5_4
; %bb.3:                                ;   in Loop: Header=BB5_2 Depth=1
	ds_store_b32 v122, v2
.LBB5_4:                                ;   in Loop: Header=BB5_2 Depth=1
	s_or_b32 exec_lo, exec_lo, s7
	v_cndmask_b32_e64 v147, 0, 1, s8
	v_readlane_b32 s7, v164, 5
	s_waitcnt lgkmcnt(0)
	s_barrier
	buffer_gl0_inv
	v_cmp_ne_u32_e32 vcc_lo, 0, v147
	v_cndmask_b32_e64 v148, 0, 1, s7
	v_readlane_b32 s7, v164, 6
	s_delay_alu instid0(VALU_DEP_1) | instskip(NEXT) | instid1(VALU_DEP_3)
	v_cndmask_b32_e64 v147, 0, 1, s7
	v_cmp_ne_u32_e64 s7, 0, v148
	v_xor_b32_e32 v148, vcc_lo, v131
	v_readlane_b32 vcc_lo, v164, 7
	s_delay_alu instid0(VALU_DEP_2) | instskip(NEXT) | instid1(VALU_DEP_2)
	v_and_b32_e32 v148, exec_lo, v148
	v_cndmask_b32_e64 v149, 0, 1, vcc_lo
	v_cmp_ne_u32_e32 vcc_lo, 0, v147
	v_xor_b32_e32 v147, s7, v18
	v_readlane_b32 s7, v164, 8
	s_delay_alu instid0(VALU_DEP_2) | instskip(NEXT) | instid1(VALU_DEP_2)
	v_and_b32_e32 v147, v148, v147
	v_cndmask_b32_e64 v150, 0, 1, s7
	v_cmp_ne_u32_e64 s7, 0, v149
	v_xor_b32_e32 v149, vcc_lo, v19
	v_readlane_b32 vcc_lo, v164, 9
	s_delay_alu instid0(VALU_DEP_2) | instskip(NEXT) | instid1(VALU_DEP_2)
	v_and_b32_e32 v147, v147, v149
	v_cndmask_b32_e64 v148, 0, 1, vcc_lo
	v_cmp_ne_u32_e32 vcc_lo, 0, v150
	v_xor_b32_e32 v150, s7, v20
	v_readlane_b32 s7, v164, 10
	s_delay_alu instid0(VALU_DEP_2) | instskip(NEXT) | instid1(VALU_DEP_2)
	v_and_b32_e32 v147, v147, v150
	v_cndmask_b32_e64 v149, 0, 1, s7
	v_cmp_ne_u32_e64 s7, 0, v148
	v_xor_b32_e32 v148, vcc_lo, v21
	s_delay_alu instid0(VALU_DEP_3) | instskip(NEXT) | instid1(VALU_DEP_3)
	v_cmp_ne_u32_e32 vcc_lo, 0, v149
	v_xor_b32_e32 v149, s7, v22
	v_readlane_b32 s7, v164, 11
	s_delay_alu instid0(VALU_DEP_4) | instskip(SKIP_1) | instid1(VALU_DEP_3)
	v_and_b32_e32 v147, v147, v148
	v_xor_b32_e32 v150, vcc_lo, v23
	v_cndmask_b32_e64 v148, 0, 1, s7
	s_delay_alu instid0(VALU_DEP_3) | instskip(SKIP_1) | instid1(VALU_DEP_2)
	v_and_b32_e32 v147, v147, v149
	s_mov_b32 s7, exec_lo
	v_cmp_ne_u32_e32 vcc_lo, 0, v148
	s_delay_alu instid0(VALU_DEP_2) | instskip(SKIP_1) | instid1(VALU_DEP_1)
	v_and_b32_e32 v147, v147, v150
	v_xor_b32_e32 v148, vcc_lo, v24
	v_and_b32_e32 v147, v147, v148
	s_delay_alu instid0(VALU_DEP_1) | instskip(NEXT) | instid1(VALU_DEP_1)
	v_mbcnt_lo_u32_b32 v148, v147, 0
	v_cmpx_eq_u32_e32 0, v148
	s_cbranch_execz .LBB5_6
; %bb.5:                                ;   in Loop: Header=BB5_2 Depth=1
	v_bcnt_u32_b32 v147, v147, 0
	ds_add_u32 v1, v147
.LBB5_6:                                ;   in Loop: Header=BB5_2 Depth=1
	s_or_b32 exec_lo, exec_lo, s7
	v_cndmask_b32_e64 v147, 0, 1, s9
	v_readlane_b32 s7, v164, 12
	s_delay_alu instid0(VALU_DEP_2) | instskip(NEXT) | instid1(VALU_DEP_2)
	v_cmp_ne_u32_e32 vcc_lo, 0, v147
	v_cndmask_b32_e64 v148, 0, 1, s7
	v_readlane_b32 s7, v164, 13
	s_delay_alu instid0(VALU_DEP_1) | instskip(NEXT) | instid1(VALU_DEP_3)
	v_cndmask_b32_e64 v147, 0, 1, s7
	v_cmp_ne_u32_e64 s7, 0, v148
	v_xor_b32_e32 v148, vcc_lo, v132
	v_readlane_b32 vcc_lo, v164, 14
	s_delay_alu instid0(VALU_DEP_2) | instskip(NEXT) | instid1(VALU_DEP_2)
	v_and_b32_e32 v148, exec_lo, v148
	v_cndmask_b32_e64 v149, 0, 1, vcc_lo
	v_cmp_ne_u32_e32 vcc_lo, 0, v147
	v_xor_b32_e32 v147, s7, v25
	v_readlane_b32 s7, v164, 15
	s_delay_alu instid0(VALU_DEP_2) | instskip(NEXT) | instid1(VALU_DEP_2)
	v_and_b32_e32 v147, v148, v147
	v_cndmask_b32_e64 v150, 0, 1, s7
	v_cmp_ne_u32_e64 s7, 0, v149
	v_xor_b32_e32 v149, vcc_lo, v26
	v_readlane_b32 vcc_lo, v164, 16
	s_delay_alu instid0(VALU_DEP_2) | instskip(NEXT) | instid1(VALU_DEP_2)
	v_and_b32_e32 v147, v147, v149
	v_cndmask_b32_e64 v148, 0, 1, vcc_lo
	v_cmp_ne_u32_e32 vcc_lo, 0, v150
	v_xor_b32_e32 v150, s7, v27
	v_readlane_b32 s7, v164, 17
	s_delay_alu instid0(VALU_DEP_2) | instskip(NEXT) | instid1(VALU_DEP_2)
	v_and_b32_e32 v147, v147, v150
	v_cndmask_b32_e64 v149, 0, 1, s7
	v_cmp_ne_u32_e64 s7, 0, v148
	v_xor_b32_e32 v148, vcc_lo, v28
	s_delay_alu instid0(VALU_DEP_3) | instskip(NEXT) | instid1(VALU_DEP_3)
	v_cmp_ne_u32_e32 vcc_lo, 0, v149
	v_xor_b32_e32 v149, s7, v29
	v_readlane_b32 s7, v164, 18
	s_delay_alu instid0(VALU_DEP_4) | instskip(SKIP_1) | instid1(VALU_DEP_3)
	v_and_b32_e32 v147, v147, v148
	v_xor_b32_e32 v150, vcc_lo, v30
	v_cndmask_b32_e64 v148, 0, 1, s7
	s_delay_alu instid0(VALU_DEP_3) | instskip(SKIP_1) | instid1(VALU_DEP_2)
	v_and_b32_e32 v147, v147, v149
	s_mov_b32 s7, exec_lo
	v_cmp_ne_u32_e32 vcc_lo, 0, v148
	s_delay_alu instid0(VALU_DEP_2) | instskip(SKIP_1) | instid1(VALU_DEP_1)
	v_and_b32_e32 v147, v147, v150
	v_xor_b32_e32 v148, vcc_lo, v31
	v_and_b32_e32 v147, v147, v148
	s_delay_alu instid0(VALU_DEP_1) | instskip(NEXT) | instid1(VALU_DEP_1)
	v_mbcnt_lo_u32_b32 v148, v147, 0
	v_cmpx_eq_u32_e32 0, v148
	s_cbranch_execz .LBB5_8
; %bb.7:                                ;   in Loop: Header=BB5_2 Depth=1
	v_bcnt_u32_b32 v147, v147, 0
	ds_add_u32 v3, v147
.LBB5_8:                                ;   in Loop: Header=BB5_2 Depth=1
	s_or_b32 exec_lo, exec_lo, s7
	v_cndmask_b32_e64 v147, 0, 1, s10
	v_readlane_b32 s7, v164, 19
	s_delay_alu instid0(VALU_DEP_2) | instskip(NEXT) | instid1(VALU_DEP_2)
	v_cmp_ne_u32_e32 vcc_lo, 0, v147
	v_cndmask_b32_e64 v148, 0, 1, s7
	v_readlane_b32 s7, v164, 20
	s_delay_alu instid0(VALU_DEP_1) | instskip(NEXT) | instid1(VALU_DEP_3)
	v_cndmask_b32_e64 v147, 0, 1, s7
	v_cmp_ne_u32_e64 s7, 0, v148
	v_xor_b32_e32 v148, vcc_lo, v133
	v_readlane_b32 vcc_lo, v164, 21
	s_delay_alu instid0(VALU_DEP_2) | instskip(NEXT) | instid1(VALU_DEP_2)
	v_and_b32_e32 v148, exec_lo, v148
	v_cndmask_b32_e64 v149, 0, 1, vcc_lo
	v_cmp_ne_u32_e32 vcc_lo, 0, v147
	v_xor_b32_e32 v147, s7, v32
	v_readlane_b32 s7, v164, 22
	s_delay_alu instid0(VALU_DEP_2) | instskip(NEXT) | instid1(VALU_DEP_2)
	v_and_b32_e32 v147, v148, v147
	v_cndmask_b32_e64 v150, 0, 1, s7
	v_cmp_ne_u32_e64 s7, 0, v149
	v_xor_b32_e32 v149, vcc_lo, v33
	v_readlane_b32 vcc_lo, v164, 23
	s_delay_alu instid0(VALU_DEP_2) | instskip(NEXT) | instid1(VALU_DEP_2)
	v_and_b32_e32 v147, v147, v149
	v_cndmask_b32_e64 v148, 0, 1, vcc_lo
	v_cmp_ne_u32_e32 vcc_lo, 0, v150
	v_xor_b32_e32 v150, s7, v34
	v_readlane_b32 s7, v164, 24
	s_delay_alu instid0(VALU_DEP_2) | instskip(NEXT) | instid1(VALU_DEP_2)
	v_and_b32_e32 v147, v147, v150
	v_cndmask_b32_e64 v149, 0, 1, s7
	v_cmp_ne_u32_e64 s7, 0, v148
	v_xor_b32_e32 v148, vcc_lo, v35
	s_delay_alu instid0(VALU_DEP_3) | instskip(NEXT) | instid1(VALU_DEP_3)
	v_cmp_ne_u32_e32 vcc_lo, 0, v149
	v_xor_b32_e32 v149, s7, v36
	v_readlane_b32 s7, v164, 25
	s_delay_alu instid0(VALU_DEP_4) | instskip(SKIP_1) | instid1(VALU_DEP_3)
	v_and_b32_e32 v147, v147, v148
	v_xor_b32_e32 v150, vcc_lo, v37
	v_cndmask_b32_e64 v148, 0, 1, s7
	s_delay_alu instid0(VALU_DEP_3) | instskip(SKIP_1) | instid1(VALU_DEP_2)
	v_and_b32_e32 v147, v147, v149
	s_mov_b32 s7, exec_lo
	v_cmp_ne_u32_e32 vcc_lo, 0, v148
	s_delay_alu instid0(VALU_DEP_2) | instskip(SKIP_1) | instid1(VALU_DEP_1)
	v_and_b32_e32 v147, v147, v150
	v_xor_b32_e32 v148, vcc_lo, v38
	v_and_b32_e32 v147, v147, v148
	s_delay_alu instid0(VALU_DEP_1) | instskip(NEXT) | instid1(VALU_DEP_1)
	v_mbcnt_lo_u32_b32 v148, v147, 0
	v_cmpx_eq_u32_e32 0, v148
	s_cbranch_execz .LBB5_10
; %bb.9:                                ;   in Loop: Header=BB5_2 Depth=1
	v_bcnt_u32_b32 v147, v147, 0
	ds_add_u32 v4, v147
.LBB5_10:                               ;   in Loop: Header=BB5_2 Depth=1
	s_or_b32 exec_lo, exec_lo, s7
	v_cndmask_b32_e64 v147, 0, 1, s11
	v_readlane_b32 s7, v164, 26
	s_delay_alu instid0(VALU_DEP_2) | instskip(NEXT) | instid1(VALU_DEP_2)
	v_cmp_ne_u32_e32 vcc_lo, 0, v147
	v_cndmask_b32_e64 v148, 0, 1, s7
	v_readlane_b32 s7, v164, 27
	s_delay_alu instid0(VALU_DEP_1) | instskip(NEXT) | instid1(VALU_DEP_3)
	v_cndmask_b32_e64 v147, 0, 1, s7
	v_cmp_ne_u32_e64 s7, 0, v148
	v_xor_b32_e32 v148, vcc_lo, v134
	v_readlane_b32 vcc_lo, v164, 28
	s_delay_alu instid0(VALU_DEP_2) | instskip(NEXT) | instid1(VALU_DEP_2)
	v_and_b32_e32 v148, exec_lo, v148
	v_cndmask_b32_e64 v149, 0, 1, vcc_lo
	v_cmp_ne_u32_e32 vcc_lo, 0, v147
	v_xor_b32_e32 v147, s7, v39
	v_readlane_b32 s7, v164, 29
	s_delay_alu instid0(VALU_DEP_2) | instskip(NEXT) | instid1(VALU_DEP_2)
	v_and_b32_e32 v147, v148, v147
	v_cndmask_b32_e64 v150, 0, 1, s7
	v_cmp_ne_u32_e64 s7, 0, v149
	v_xor_b32_e32 v149, vcc_lo, v40
	v_readlane_b32 vcc_lo, v164, 30
	s_delay_alu instid0(VALU_DEP_2) | instskip(NEXT) | instid1(VALU_DEP_2)
	v_and_b32_e32 v147, v147, v149
	v_cndmask_b32_e64 v148, 0, 1, vcc_lo
	v_cmp_ne_u32_e32 vcc_lo, 0, v150
	v_xor_b32_e32 v150, s7, v41
	v_cndmask_b32_e64 v149, 0, 1, s26
	s_delay_alu instid0(VALU_DEP_4) | instskip(SKIP_1) | instid1(VALU_DEP_4)
	v_cmp_ne_u32_e64 s7, 0, v148
	v_xor_b32_e32 v148, vcc_lo, v42
	v_and_b32_e32 v147, v147, v150
	s_delay_alu instid0(VALU_DEP_4) | instskip(NEXT) | instid1(VALU_DEP_4)
	v_cmp_ne_u32_e32 vcc_lo, 0, v149
	v_xor_b32_e32 v149, s7, v43
	s_mov_b32 s7, exec_lo
	s_delay_alu instid0(VALU_DEP_3) | instskip(SKIP_2) | instid1(VALU_DEP_3)
	v_and_b32_e32 v147, v147, v148
	v_cndmask_b32_e64 v148, 0, 1, s27
	v_xor_b32_e32 v150, vcc_lo, v44
	v_and_b32_e32 v147, v147, v149
	s_delay_alu instid0(VALU_DEP_3) | instskip(NEXT) | instid1(VALU_DEP_2)
	v_cmp_ne_u32_e32 vcc_lo, 0, v148
	v_and_b32_e32 v147, v147, v150
	v_xor_b32_e32 v148, vcc_lo, v45
	s_delay_alu instid0(VALU_DEP_1) | instskip(NEXT) | instid1(VALU_DEP_1)
	v_and_b32_e32 v147, v147, v148
	v_mbcnt_lo_u32_b32 v148, v147, 0
	s_delay_alu instid0(VALU_DEP_1)
	v_cmpx_eq_u32_e32 0, v148
	s_cbranch_execz .LBB5_12
; %bb.11:                               ;   in Loop: Header=BB5_2 Depth=1
	v_bcnt_u32_b32 v147, v147, 0
	ds_add_u32 v5, v147
.LBB5_12:                               ;   in Loop: Header=BB5_2 Depth=1
	s_or_b32 exec_lo, exec_lo, s7
	v_cndmask_b32_e64 v147, 0, 1, s12
	v_cndmask_b32_e64 v148, 0, 1, s28
	v_cndmask_b32_e64 v149, 0, 1, s30
	v_cndmask_b32_e64 v150, 0, 1, s31
	s_delay_alu instid0(VALU_DEP_4) | instskip(SKIP_3) | instid1(VALU_DEP_3)
	v_cmp_ne_u32_e32 vcc_lo, 0, v147
	v_cndmask_b32_e64 v147, 0, 1, s29
	v_cmp_ne_u32_e64 s7, 0, v148
	v_xor_b32_e32 v148, vcc_lo, v135
	v_cmp_ne_u32_e32 vcc_lo, 0, v147
	s_delay_alu instid0(VALU_DEP_3) | instskip(SKIP_1) | instid1(VALU_DEP_4)
	v_xor_b32_e32 v147, s7, v46
	v_cmp_ne_u32_e64 s7, 0, v149
	v_and_b32_e32 v148, exec_lo, v148
	v_xor_b32_e32 v149, vcc_lo, v47
	v_cmp_ne_u32_e32 vcc_lo, 0, v150
	s_delay_alu instid0(VALU_DEP_4) | instskip(NEXT) | instid1(VALU_DEP_4)
	v_xor_b32_e32 v150, s7, v48
	v_and_b32_e32 v147, v148, v147
	v_cndmask_b32_e64 v148, 0, 1, s33
	s_delay_alu instid0(VALU_DEP_2) | instskip(SKIP_1) | instid1(VALU_DEP_3)
	v_and_b32_e32 v147, v147, v149
	v_cndmask_b32_e64 v149, 0, 1, s34
	v_cmp_ne_u32_e64 s7, 0, v148
	v_xor_b32_e32 v148, vcc_lo, v49
	s_delay_alu instid0(VALU_DEP_4) | instskip(NEXT) | instid1(VALU_DEP_4)
	v_and_b32_e32 v147, v147, v150
	v_cmp_ne_u32_e32 vcc_lo, 0, v149
	s_delay_alu instid0(VALU_DEP_4) | instskip(SKIP_1) | instid1(VALU_DEP_3)
	v_xor_b32_e32 v149, s7, v50
	s_mov_b32 s7, exec_lo
	v_and_b32_e32 v147, v147, v148
	v_cndmask_b32_e64 v148, 0, 1, s35
	v_xor_b32_e32 v150, vcc_lo, v51
	s_delay_alu instid0(VALU_DEP_3) | instskip(NEXT) | instid1(VALU_DEP_3)
	v_and_b32_e32 v147, v147, v149
	v_cmp_ne_u32_e32 vcc_lo, 0, v148
	s_delay_alu instid0(VALU_DEP_2) | instskip(SKIP_1) | instid1(VALU_DEP_1)
	v_and_b32_e32 v147, v147, v150
	v_xor_b32_e32 v148, vcc_lo, v52
	v_and_b32_e32 v147, v147, v148
	s_delay_alu instid0(VALU_DEP_1) | instskip(NEXT) | instid1(VALU_DEP_1)
	v_mbcnt_lo_u32_b32 v148, v147, 0
	v_cmpx_eq_u32_e32 0, v148
	s_cbranch_execz .LBB5_14
; %bb.13:                               ;   in Loop: Header=BB5_2 Depth=1
	v_bcnt_u32_b32 v147, v147, 0
	ds_add_u32 v6, v147
.LBB5_14:                               ;   in Loop: Header=BB5_2 Depth=1
	s_or_b32 exec_lo, exec_lo, s7
	v_cndmask_b32_e64 v147, 0, 1, s13
	v_cndmask_b32_e64 v148, 0, 1, s36
	v_cndmask_b32_e64 v149, 0, 1, s38
	v_cndmask_b32_e64 v150, 0, 1, s39
	s_delay_alu instid0(VALU_DEP_4) | instskip(SKIP_3) | instid1(VALU_DEP_3)
	v_cmp_ne_u32_e32 vcc_lo, 0, v147
	v_cndmask_b32_e64 v147, 0, 1, s37
	v_cmp_ne_u32_e64 s7, 0, v148
	v_xor_b32_e32 v148, vcc_lo, v136
	v_cmp_ne_u32_e32 vcc_lo, 0, v147
	s_delay_alu instid0(VALU_DEP_3) | instskip(SKIP_1) | instid1(VALU_DEP_4)
	v_xor_b32_e32 v147, s7, v53
	v_cmp_ne_u32_e64 s7, 0, v149
	v_and_b32_e32 v148, exec_lo, v148
	v_xor_b32_e32 v149, vcc_lo, v54
	v_cmp_ne_u32_e32 vcc_lo, 0, v150
	s_delay_alu instid0(VALU_DEP_4) | instskip(NEXT) | instid1(VALU_DEP_4)
	v_xor_b32_e32 v150, s7, v55
	v_and_b32_e32 v147, v148, v147
	v_cndmask_b32_e64 v148, 0, 1, s40
	s_delay_alu instid0(VALU_DEP_2) | instskip(SKIP_1) | instid1(VALU_DEP_3)
	v_and_b32_e32 v147, v147, v149
	v_cndmask_b32_e64 v149, 0, 1, s41
	v_cmp_ne_u32_e64 s7, 0, v148
	v_xor_b32_e32 v148, vcc_lo, v56
	s_delay_alu instid0(VALU_DEP_4) | instskip(NEXT) | instid1(VALU_DEP_4)
	v_and_b32_e32 v147, v147, v150
	v_cmp_ne_u32_e32 vcc_lo, 0, v149
	s_delay_alu instid0(VALU_DEP_4) | instskip(SKIP_1) | instid1(VALU_DEP_3)
	v_xor_b32_e32 v149, s7, v57
	s_mov_b32 s7, exec_lo
	v_and_b32_e32 v147, v147, v148
	v_cndmask_b32_e64 v148, 0, 1, s42
	v_xor_b32_e32 v150, vcc_lo, v58
	s_delay_alu instid0(VALU_DEP_3) | instskip(NEXT) | instid1(VALU_DEP_3)
	v_and_b32_e32 v147, v147, v149
	v_cmp_ne_u32_e32 vcc_lo, 0, v148
	s_delay_alu instid0(VALU_DEP_2) | instskip(SKIP_1) | instid1(VALU_DEP_1)
	v_and_b32_e32 v147, v147, v150
	v_xor_b32_e32 v148, vcc_lo, v59
	v_and_b32_e32 v147, v147, v148
	s_delay_alu instid0(VALU_DEP_1) | instskip(NEXT) | instid1(VALU_DEP_1)
	v_mbcnt_lo_u32_b32 v148, v147, 0
	;; [unrolled: 50-line block ×10, first 2 shown]
	v_cmpx_eq_u32_e32 0, v148
	s_cbranch_execz .LBB5_32
; %bb.31:                               ;   in Loop: Header=BB5_2 Depth=1
	v_bcnt_u32_b32 v147, v147, 0
	ds_add_u32 v15, v147
.LBB5_32:                               ;   in Loop: Header=BB5_2 Depth=1
	s_or_b32 exec_lo, exec_lo, s7
	v_cndmask_b32_e64 v147, 0, 1, s23
	v_cndmask_b32_e64 v148, 0, 1, s99
	v_cndmask_b32_e64 v149, 0, 1, s101
	v_cndmask_b32_e64 v150, 0, 1, s102
	s_delay_alu instid0(VALU_DEP_4) | instskip(SKIP_3) | instid1(VALU_DEP_3)
	v_cmp_ne_u32_e32 vcc_lo, 0, v147
	v_cndmask_b32_e64 v147, 0, 1, s100
	v_cmp_ne_u32_e64 s7, 0, v148
	v_xor_b32_e32 v148, vcc_lo, v145
	v_cmp_ne_u32_e32 vcc_lo, 0, v147
	s_delay_alu instid0(VALU_DEP_3) | instskip(SKIP_1) | instid1(VALU_DEP_4)
	v_xor_b32_e32 v147, s7, v116
	v_cmp_ne_u32_e64 s7, 0, v149
	v_and_b32_e32 v148, exec_lo, v148
	v_xor_b32_e32 v149, vcc_lo, v117
	v_cmp_ne_u32_e32 vcc_lo, 0, v150
	s_delay_alu instid0(VALU_DEP_4) | instskip(NEXT) | instid1(VALU_DEP_4)
	v_xor_b32_e32 v150, s7, v118
	v_and_b32_e32 v147, v148, v147
	v_cndmask_b32_e64 v148, 0, 1, s103
	s_delay_alu instid0(VALU_DEP_2) | instskip(SKIP_1) | instid1(VALU_DEP_3)
	v_and_b32_e32 v147, v147, v149
	v_cndmask_b32_e64 v149, 0, 1, s104
	v_cmp_ne_u32_e64 s7, 0, v148
	v_xor_b32_e32 v148, vcc_lo, v119
	s_delay_alu instid0(VALU_DEP_4) | instskip(NEXT) | instid1(VALU_DEP_4)
	v_and_b32_e32 v147, v147, v150
	v_cmp_ne_u32_e32 vcc_lo, 0, v149
	s_delay_alu instid0(VALU_DEP_4) | instskip(SKIP_1) | instid1(VALU_DEP_3)
	v_xor_b32_e32 v149, s7, v120
	s_mov_b32 s7, exec_lo
	v_and_b32_e32 v147, v147, v148
	v_cndmask_b32_e64 v148, 0, 1, vcc_hi
	v_xor_b32_e32 v150, vcc_lo, v121
	s_delay_alu instid0(VALU_DEP_3) | instskip(NEXT) | instid1(VALU_DEP_3)
	v_and_b32_e32 v147, v147, v149
	v_cmp_ne_u32_e32 vcc_lo, 0, v148
	s_delay_alu instid0(VALU_DEP_2) | instskip(SKIP_1) | instid1(VALU_DEP_1)
	v_and_b32_e32 v147, v147, v150
	v_xor_b32_e32 v148, vcc_lo, v123
	v_and_b32_e32 v147, v147, v148
	s_delay_alu instid0(VALU_DEP_1) | instskip(NEXT) | instid1(VALU_DEP_1)
	v_mbcnt_lo_u32_b32 v148, v147, 0
	v_cmpx_eq_u32_e32 0, v148
	s_cbranch_execz .LBB5_34
; %bb.33:                               ;   in Loop: Header=BB5_2 Depth=1
	v_bcnt_u32_b32 v147, v147, 0
	ds_add_u32 v16, v147
.LBB5_34:                               ;   in Loop: Header=BB5_2 Depth=1
	s_or_b32 exec_lo, exec_lo, s7
	v_cndmask_b32_e64 v147, 0, 1, s24
	v_cndmask_b32_e64 v148, 0, 1, s15
	v_cndmask_b32_e64 v149, 0, 1, s1
	v_cndmask_b32_e64 v150, 0, 1, s2
	s_delay_alu instid0(VALU_DEP_4) | instskip(SKIP_3) | instid1(VALU_DEP_3)
	v_cmp_ne_u32_e32 vcc_lo, 0, v147
	v_cndmask_b32_e64 v147, 0, 1, s0
	v_cmp_ne_u32_e64 s7, 0, v148
	v_xor_b32_e32 v148, vcc_lo, v146
	v_cmp_ne_u32_e32 vcc_lo, 0, v147
	s_delay_alu instid0(VALU_DEP_3) | instskip(SKIP_1) | instid1(VALU_DEP_4)
	v_xor_b32_e32 v147, s7, v124
	v_cmp_ne_u32_e64 s7, 0, v149
	v_and_b32_e32 v148, exec_lo, v148
	v_xor_b32_e32 v149, vcc_lo, v125
	v_cmp_ne_u32_e32 vcc_lo, 0, v150
	s_delay_alu instid0(VALU_DEP_4) | instskip(NEXT) | instid1(VALU_DEP_4)
	v_xor_b32_e32 v150, s7, v126
	v_and_b32_e32 v147, v148, v147
	v_cndmask_b32_e64 v148, 0, 1, s3
	s_delay_alu instid0(VALU_DEP_2) | instskip(SKIP_1) | instid1(VALU_DEP_3)
	v_and_b32_e32 v147, v147, v149
	v_cndmask_b32_e64 v149, 0, 1, s4
	v_cmp_ne_u32_e64 s7, 0, v148
	v_xor_b32_e32 v148, vcc_lo, v127
	s_delay_alu instid0(VALU_DEP_4) | instskip(NEXT) | instid1(VALU_DEP_4)
	v_and_b32_e32 v147, v147, v150
	v_cmp_ne_u32_e32 vcc_lo, 0, v149
	s_delay_alu instid0(VALU_DEP_4) | instskip(SKIP_1) | instid1(VALU_DEP_3)
	v_xor_b32_e32 v149, s7, v128
	s_mov_b32 s7, exec_lo
	v_and_b32_e32 v147, v147, v148
	v_cndmask_b32_e64 v148, 0, 1, s5
	v_xor_b32_e32 v150, vcc_lo, v129
	s_delay_alu instid0(VALU_DEP_3) | instskip(NEXT) | instid1(VALU_DEP_3)
	v_and_b32_e32 v147, v147, v149
	v_cmp_ne_u32_e32 vcc_lo, 0, v148
	s_delay_alu instid0(VALU_DEP_2) | instskip(SKIP_1) | instid1(VALU_DEP_1)
	v_and_b32_e32 v147, v147, v150
	v_xor_b32_e32 v148, vcc_lo, v130
	v_and_b32_e32 v147, v147, v148
	s_delay_alu instid0(VALU_DEP_1) | instskip(NEXT) | instid1(VALU_DEP_1)
	v_mbcnt_lo_u32_b32 v148, v147, 0
	v_cmpx_eq_u32_e32 0, v148
	s_cbranch_execz .LBB5_1
; %bb.35:                               ;   in Loop: Header=BB5_2 Depth=1
	v_bcnt_u32_b32 v147, v147, 0
	ds_add_u32 v17, v147
	s_branch .LBB5_1
.LBB5_36:
	s_and_saveexec_b32 s0, s6
	s_cbranch_execz .LBB5_38
; %bb.37:
	v_readlane_b32 s0, v164, 0
	ds_load_b32 v2, v122
	v_mov_b32_e32 v1, 0
	v_lshl_or_b32 v0, s0, 8, v0
	v_readlane_b32 s0, v164, 1
	v_readlane_b32 s2, v164, 3
	;; [unrolled: 1-line block ×4, first 2 shown]
	v_lshlrev_b64 v[0:1], 2, v[0:1]
	s_delay_alu instid0(VALU_DEP_1) | instskip(NEXT) | instid1(VALU_DEP_2)
	v_add_co_u32 v0, vcc_lo, s2, v0
	v_add_co_ci_u32_e32 v1, vcc_lo, s3, v1, vcc_lo
	s_waitcnt lgkmcnt(0)
	global_store_b32 v[0:1], v2, off
.LBB5_38:
	s_nop 0
	s_sendmsg sendmsg(MSG_DEALLOC_VGPRS)
	s_endpgm
	.section	.rodata,"a",@progbits
	.p2align	6, 0x0
	.amdhsa_kernel _Z6kernelI9histogramILN6hipcub23BlockHistogramAlgorithmE0EEiLj256ELj16ELj256ELj100EEvPKT0_PS4_
		.amdhsa_group_segment_fixed_size 1024
		.amdhsa_private_segment_fixed_size 0
		.amdhsa_kernarg_size 16
		.amdhsa_user_sgpr_count 15
		.amdhsa_user_sgpr_dispatch_ptr 0
		.amdhsa_user_sgpr_queue_ptr 0
		.amdhsa_user_sgpr_kernarg_segment_ptr 1
		.amdhsa_user_sgpr_dispatch_id 0
		.amdhsa_user_sgpr_private_segment_size 0
		.amdhsa_wavefront_size32 1
		.amdhsa_uses_dynamic_stack 0
		.amdhsa_enable_private_segment 0
		.amdhsa_system_sgpr_workgroup_id_x 1
		.amdhsa_system_sgpr_workgroup_id_y 0
		.amdhsa_system_sgpr_workgroup_id_z 0
		.amdhsa_system_sgpr_workgroup_info 0
		.amdhsa_system_vgpr_workitem_id 0
		.amdhsa_next_free_vgpr 165
		.amdhsa_next_free_sgpr 105
		.amdhsa_reserve_vcc 1
		.amdhsa_float_round_mode_32 0
		.amdhsa_float_round_mode_16_64 0
		.amdhsa_float_denorm_mode_32 3
		.amdhsa_float_denorm_mode_16_64 3
		.amdhsa_dx10_clamp 1
		.amdhsa_ieee_mode 1
		.amdhsa_fp16_overflow 0
		.amdhsa_workgroup_processor_mode 1
		.amdhsa_memory_ordered 1
		.amdhsa_forward_progress 0
		.amdhsa_shared_vgpr_count 0
		.amdhsa_exception_fp_ieee_invalid_op 0
		.amdhsa_exception_fp_denorm_src 0
		.amdhsa_exception_fp_ieee_div_zero 0
		.amdhsa_exception_fp_ieee_overflow 0
		.amdhsa_exception_fp_ieee_underflow 0
		.amdhsa_exception_fp_ieee_inexact 0
		.amdhsa_exception_int_div_zero 0
	.end_amdhsa_kernel
	.section	.text._Z6kernelI9histogramILN6hipcub23BlockHistogramAlgorithmE0EEiLj256ELj16ELj256ELj100EEvPKT0_PS4_,"axG",@progbits,_Z6kernelI9histogramILN6hipcub23BlockHistogramAlgorithmE0EEiLj256ELj16ELj256ELj100EEvPKT0_PS4_,comdat
.Lfunc_end5:
	.size	_Z6kernelI9histogramILN6hipcub23BlockHistogramAlgorithmE0EEiLj256ELj16ELj256ELj100EEvPKT0_PS4_, .Lfunc_end5-_Z6kernelI9histogramILN6hipcub23BlockHistogramAlgorithmE0EEiLj256ELj16ELj256ELj100EEvPKT0_PS4_
                                        ; -- End function
	.section	.AMDGPU.csdata,"",@progbits
; Kernel info:
; codeLenInByte = 7268
; NumSgprs: 107
; NumVgprs: 165
; ScratchSize: 0
; MemoryBound: 0
; FloatMode: 240
; IeeeMode: 1
; LDSByteSize: 1024 bytes/workgroup (compile time only)
; SGPRBlocks: 13
; VGPRBlocks: 20
; NumSGPRsForWavesPerEU: 107
; NumVGPRsForWavesPerEU: 165
; Occupancy: 9
; WaveLimiterHint : 0
; COMPUTE_PGM_RSRC2:SCRATCH_EN: 0
; COMPUTE_PGM_RSRC2:USER_SGPR: 15
; COMPUTE_PGM_RSRC2:TRAP_HANDLER: 0
; COMPUTE_PGM_RSRC2:TGID_X_EN: 1
; COMPUTE_PGM_RSRC2:TGID_Y_EN: 0
; COMPUTE_PGM_RSRC2:TGID_Z_EN: 0
; COMPUTE_PGM_RSRC2:TIDIG_COMP_CNT: 0
	.section	.text._Z6kernelI9histogramILN6hipcub23BlockHistogramAlgorithmE0EEiLj320ELj1ELj320ELj100EEvPKT0_PS4_,"axG",@progbits,_Z6kernelI9histogramILN6hipcub23BlockHistogramAlgorithmE0EEiLj320ELj1ELj320ELj100EEvPKT0_PS4_,comdat
	.protected	_Z6kernelI9histogramILN6hipcub23BlockHistogramAlgorithmE0EEiLj320ELj1ELj320ELj100EEvPKT0_PS4_ ; -- Begin function _Z6kernelI9histogramILN6hipcub23BlockHistogramAlgorithmE0EEiLj320ELj1ELj320ELj100EEvPKT0_PS4_
	.globl	_Z6kernelI9histogramILN6hipcub23BlockHistogramAlgorithmE0EEiLj320ELj1ELj320ELj100EEvPKT0_PS4_
	.p2align	8
	.type	_Z6kernelI9histogramILN6hipcub23BlockHistogramAlgorithmE0EEiLj320ELj1ELj320ELj100EEvPKT0_PS4_,@function
_Z6kernelI9histogramILN6hipcub23BlockHistogramAlgorithmE0EEiLj320ELj1ELj320ELj100EEvPKT0_PS4_: ; @_Z6kernelI9histogramILN6hipcub23BlockHistogramAlgorithmE0EEiLj320ELj1ELj320ELj100EEvPKT0_PS4_
; %bb.0:
	s_load_b128 s[0:3], s[0:1], 0x0
	v_mad_u64_u32 v[2:3], null, 0x140, s15, v[0:1]
	v_mov_b32_e32 v3, 0
	s_movk_i32 s4, 0x64
	s_delay_alu instid0(VALU_DEP_1) | instskip(SKIP_1) | instid1(VALU_DEP_1)
	v_lshlrev_b64 v[1:2], 2, v[2:3]
	s_waitcnt lgkmcnt(0)
	v_add_co_u32 v4, vcc_lo, s0, v1
	s_delay_alu instid0(VALU_DEP_2)
	v_add_co_ci_u32_e32 v5, vcc_lo, s1, v2, vcc_lo
	v_cmp_gt_u32_e32 vcc_lo, 0x140, v0
	v_lshlrev_b32_e32 v0, 2, v0
	global_load_b32 v4, v[4:5], off
	s_waitcnt vmcnt(0)
	v_and_b32_e32 v5, 1, v4
	v_lshlrev_b32_e32 v7, 30, v4
	v_lshlrev_b32_e32 v8, 29, v4
	;; [unrolled: 1-line block ×4, first 2 shown]
	v_add_co_u32 v5, s0, v5, -1
	s_delay_alu instid0(VALU_DEP_1)
	v_cndmask_b32_e64 v6, 0, 1, s0
	v_cmp_gt_i32_e64 s0, 0, v7
	v_not_b32_e32 v14, v7
	v_not_b32_e32 v15, v8
	v_lshlrev_b32_e32 v11, 26, v4
	v_not_b32_e32 v16, v9
	v_cndmask_b32_e64 v7, 0, 1, s0
	v_cmp_gt_i32_e64 s0, 0, v8
	v_lshlrev_b32_e32 v12, 25, v4
	v_not_b32_e32 v17, v10
	v_lshlrev_b32_e32 v13, 24, v4
	v_not_b32_e32 v18, v11
	v_cndmask_b32_e64 v8, 0, 1, s0
	v_cmp_gt_i32_e64 s0, 0, v9
	v_lshlrev_b32_e32 v22, 23, v4
	v_not_b32_e32 v19, v12
	v_not_b32_e32 v20, v13
	v_lshlrev_b32_e32 v4, 2, v4
	v_cndmask_b32_e64 v9, 0, 1, s0
	v_cmp_gt_i32_e64 s0, 0, v10
	v_not_b32_e32 v21, v22
	v_ashrrev_i32_e32 v14, 31, v14
	v_ashrrev_i32_e32 v15, 31, v15
	;; [unrolled: 1-line block ×3, first 2 shown]
	v_cndmask_b32_e64 v10, 0, 1, s0
	v_cmp_gt_i32_e64 s0, 0, v11
	v_ashrrev_i32_e32 v17, 31, v17
	v_ashrrev_i32_e32 v18, 31, v18
	;; [unrolled: 1-line block ×4, first 2 shown]
	v_cndmask_b32_e64 v11, 0, 1, s0
	v_cmp_gt_i32_e64 s0, 0, v12
	v_ashrrev_i32_e32 v21, 31, v21
	s_delay_alu instid0(VALU_DEP_2) | instskip(SKIP_1) | instid1(VALU_DEP_1)
	v_cndmask_b32_e64 v12, 0, 1, s0
	v_cmp_gt_i32_e64 s0, 0, v13
	v_cndmask_b32_e64 v13, 0, 1, s0
	v_cmp_gt_i32_e64 s0, 0, v22
	s_delay_alu instid0(VALU_DEP_1)
	v_cndmask_b32_e64 v22, 0, 1, s0
	s_branch .LBB6_2
.LBB6_1:                                ;   in Loop: Header=BB6_2 Depth=1
	s_or_b32 exec_lo, exec_lo, s1
	s_add_i32 s4, s4, -1
	s_waitcnt lgkmcnt(0)
	s_cmp_lg_u32 s4, 0
	s_barrier
	buffer_gl0_inv
	s_cbranch_scc0 .LBB6_6
.LBB6_2:                                ; =>This Inner Loop Header: Depth=1
	s_and_saveexec_b32 s0, vcc_lo
	s_cbranch_execz .LBB6_4
; %bb.3:                                ;   in Loop: Header=BB6_2 Depth=1
	ds_store_b32 v0, v3
.LBB6_4:                                ;   in Loop: Header=BB6_2 Depth=1
	s_or_b32 exec_lo, exec_lo, s0
	v_cmp_ne_u32_e64 s0, 0, v6
	v_cmp_ne_u32_e64 s1, 0, v7
	s_waitcnt lgkmcnt(0)
	s_barrier
	buffer_gl0_inv
	v_xor_b32_e32 v23, s0, v5
	v_cmp_ne_u32_e64 s0, 0, v8
	v_xor_b32_e32 v24, s1, v14
	v_cmp_ne_u32_e64 s1, 0, v9
	s_delay_alu instid0(VALU_DEP_4) | instskip(NEXT) | instid1(VALU_DEP_4)
	v_and_b32_e32 v23, exec_lo, v23
	v_xor_b32_e32 v25, s0, v15
	v_cmp_ne_u32_e64 s0, 0, v10
	s_delay_alu instid0(VALU_DEP_3) | instskip(SKIP_2) | instid1(VALU_DEP_3)
	v_and_b32_e32 v23, v23, v24
	v_xor_b32_e32 v24, s1, v16
	v_cmp_ne_u32_e64 s1, 0, v11
	v_and_b32_e32 v23, v23, v25
	v_xor_b32_e32 v25, s0, v17
	v_cmp_ne_u32_e64 s0, 0, v12
	s_delay_alu instid0(VALU_DEP_3) | instskip(SKIP_2) | instid1(VALU_DEP_3)
	v_and_b32_e32 v23, v23, v24
	v_xor_b32_e32 v24, s1, v18
	v_cmp_ne_u32_e64 s1, 0, v13
	v_and_b32_e32 v23, v23, v25
	v_xor_b32_e32 v25, s0, v19
	v_cmp_ne_u32_e64 s0, 0, v22
	s_delay_alu instid0(VALU_DEP_3) | instskip(SKIP_2) | instid1(VALU_DEP_2)
	v_and_b32_e32 v23, v23, v24
	v_xor_b32_e32 v24, s1, v20
	s_mov_b32 s1, exec_lo
	v_and_b32_e32 v23, v23, v25
	s_delay_alu instid0(VALU_DEP_1) | instskip(SKIP_1) | instid1(VALU_DEP_1)
	v_and_b32_e32 v23, v23, v24
	v_xor_b32_e32 v24, s0, v21
	v_and_b32_e32 v23, v23, v24
	s_delay_alu instid0(VALU_DEP_1) | instskip(NEXT) | instid1(VALU_DEP_1)
	v_mbcnt_lo_u32_b32 v24, v23, 0
	v_cmpx_eq_u32_e32 0, v24
	s_cbranch_execz .LBB6_1
; %bb.5:                                ;   in Loop: Header=BB6_2 Depth=1
	v_bcnt_u32_b32 v23, v23, 0
	ds_add_u32 v4, v23
	s_branch .LBB6_1
.LBB6_6:
	s_and_saveexec_b32 s0, vcc_lo
	s_cbranch_execz .LBB6_8
; %bb.7:
	ds_load_b32 v3, v0
	v_add_co_u32 v0, vcc_lo, s2, v1
	v_add_co_ci_u32_e32 v1, vcc_lo, s3, v2, vcc_lo
	s_waitcnt lgkmcnt(0)
	global_store_b32 v[0:1], v3, off
.LBB6_8:
	s_nop 0
	s_sendmsg sendmsg(MSG_DEALLOC_VGPRS)
	s_endpgm
	.section	.rodata,"a",@progbits
	.p2align	6, 0x0
	.amdhsa_kernel _Z6kernelI9histogramILN6hipcub23BlockHistogramAlgorithmE0EEiLj320ELj1ELj320ELj100EEvPKT0_PS4_
		.amdhsa_group_segment_fixed_size 1280
		.amdhsa_private_segment_fixed_size 0
		.amdhsa_kernarg_size 16
		.amdhsa_user_sgpr_count 15
		.amdhsa_user_sgpr_dispatch_ptr 0
		.amdhsa_user_sgpr_queue_ptr 0
		.amdhsa_user_sgpr_kernarg_segment_ptr 1
		.amdhsa_user_sgpr_dispatch_id 0
		.amdhsa_user_sgpr_private_segment_size 0
		.amdhsa_wavefront_size32 1
		.amdhsa_uses_dynamic_stack 0
		.amdhsa_enable_private_segment 0
		.amdhsa_system_sgpr_workgroup_id_x 1
		.amdhsa_system_sgpr_workgroup_id_y 0
		.amdhsa_system_sgpr_workgroup_id_z 0
		.amdhsa_system_sgpr_workgroup_info 0
		.amdhsa_system_vgpr_workitem_id 0
		.amdhsa_next_free_vgpr 26
		.amdhsa_next_free_sgpr 16
		.amdhsa_reserve_vcc 1
		.amdhsa_float_round_mode_32 0
		.amdhsa_float_round_mode_16_64 0
		.amdhsa_float_denorm_mode_32 3
		.amdhsa_float_denorm_mode_16_64 3
		.amdhsa_dx10_clamp 1
		.amdhsa_ieee_mode 1
		.amdhsa_fp16_overflow 0
		.amdhsa_workgroup_processor_mode 1
		.amdhsa_memory_ordered 1
		.amdhsa_forward_progress 0
		.amdhsa_shared_vgpr_count 0
		.amdhsa_exception_fp_ieee_invalid_op 0
		.amdhsa_exception_fp_denorm_src 0
		.amdhsa_exception_fp_ieee_div_zero 0
		.amdhsa_exception_fp_ieee_overflow 0
		.amdhsa_exception_fp_ieee_underflow 0
		.amdhsa_exception_fp_ieee_inexact 0
		.amdhsa_exception_int_div_zero 0
	.end_amdhsa_kernel
	.section	.text._Z6kernelI9histogramILN6hipcub23BlockHistogramAlgorithmE0EEiLj320ELj1ELj320ELj100EEvPKT0_PS4_,"axG",@progbits,_Z6kernelI9histogramILN6hipcub23BlockHistogramAlgorithmE0EEiLj320ELj1ELj320ELj100EEvPKT0_PS4_,comdat
.Lfunc_end6:
	.size	_Z6kernelI9histogramILN6hipcub23BlockHistogramAlgorithmE0EEiLj320ELj1ELj320ELj100EEvPKT0_PS4_, .Lfunc_end6-_Z6kernelI9histogramILN6hipcub23BlockHistogramAlgorithmE0EEiLj320ELj1ELj320ELj100EEvPKT0_PS4_
                                        ; -- End function
	.section	.AMDGPU.csdata,"",@progbits
; Kernel info:
; codeLenInByte = 676
; NumSgprs: 18
; NumVgprs: 26
; ScratchSize: 0
; MemoryBound: 0
; FloatMode: 240
; IeeeMode: 1
; LDSByteSize: 1280 bytes/workgroup (compile time only)
; SGPRBlocks: 2
; VGPRBlocks: 3
; NumSGPRsForWavesPerEU: 18
; NumVGPRsForWavesPerEU: 26
; Occupancy: 15
; WaveLimiterHint : 0
; COMPUTE_PGM_RSRC2:SCRATCH_EN: 0
; COMPUTE_PGM_RSRC2:USER_SGPR: 15
; COMPUTE_PGM_RSRC2:TRAP_HANDLER: 0
; COMPUTE_PGM_RSRC2:TGID_X_EN: 1
; COMPUTE_PGM_RSRC2:TGID_Y_EN: 0
; COMPUTE_PGM_RSRC2:TGID_Z_EN: 0
; COMPUTE_PGM_RSRC2:TIDIG_COMP_CNT: 0
	.section	.text._Z6kernelI9histogramILN6hipcub23BlockHistogramAlgorithmE0EEiLj320ELj2ELj320ELj100EEvPKT0_PS4_,"axG",@progbits,_Z6kernelI9histogramILN6hipcub23BlockHistogramAlgorithmE0EEiLj320ELj2ELj320ELj100EEvPKT0_PS4_,comdat
	.protected	_Z6kernelI9histogramILN6hipcub23BlockHistogramAlgorithmE0EEiLj320ELj2ELj320ELj100EEvPKT0_PS4_ ; -- Begin function _Z6kernelI9histogramILN6hipcub23BlockHistogramAlgorithmE0EEiLj320ELj2ELj320ELj100EEvPKT0_PS4_
	.globl	_Z6kernelI9histogramILN6hipcub23BlockHistogramAlgorithmE0EEiLj320ELj2ELj320ELj100EEvPKT0_PS4_
	.p2align	8
	.type	_Z6kernelI9histogramILN6hipcub23BlockHistogramAlgorithmE0EEiLj320ELj2ELj320ELj100EEvPKT0_PS4_,@function
_Z6kernelI9histogramILN6hipcub23BlockHistogramAlgorithmE0EEiLj320ELj2ELj320ELj100EEvPKT0_PS4_: ; @_Z6kernelI9histogramILN6hipcub23BlockHistogramAlgorithmE0EEiLj320ELj2ELj320ELj100EEvPKT0_PS4_
; %bb.0:
	s_load_b128 s[0:3], s[0:1], 0x0
	v_mad_u64_u32 v[1:2], null, 0x140, s15, v[0:1]
	v_mov_b32_e32 v3, 0
	s_movk_i32 s4, 0x64
	s_delay_alu instid0(VALU_DEP_2) | instskip(NEXT) | instid1(VALU_DEP_1)
	v_lshlrev_b32_e32 v2, 1, v1
	v_lshlrev_b64 v[4:5], 2, v[2:3]
	s_waitcnt lgkmcnt(0)
	s_delay_alu instid0(VALU_DEP_1) | instskip(NEXT) | instid1(VALU_DEP_2)
	v_add_co_u32 v4, vcc_lo, s0, v4
	v_add_co_ci_u32_e32 v5, vcc_lo, s1, v5, vcc_lo
	v_cmp_gt_u32_e32 vcc_lo, 0x140, v0
	v_lshlrev_b32_e32 v0, 2, v0
	global_load_b64 v[4:5], v[4:5], off
	s_waitcnt vmcnt(0)
	v_and_b32_e32 v6, 1, v4
	v_lshlrev_b32_e32 v7, 30, v4
	v_lshlrev_b32_e32 v8, 29, v4
	;; [unrolled: 1-line block ×8, first 2 shown]
	v_and_b32_e32 v15, 1, v5
	v_lshlrev_b32_e32 v17, 30, v5
	v_lshlrev_b32_e32 v18, 29, v5
	;; [unrolled: 1-line block ×10, first 2 shown]
	v_add_co_u32 v5, s0, v6, -1
	s_delay_alu instid0(VALU_DEP_1)
	v_cndmask_b32_e64 v6, 0, 1, s0
	v_cmp_gt_i32_e64 s0, 0, v7
	v_not_b32_e32 v24, v7
	v_not_b32_e32 v25, v8
	v_not_b32_e32 v26, v9
	v_not_b32_e32 v27, v10
	v_cndmask_b32_e64 v7, 0, 1, s0
	v_cmp_gt_i32_e64 s0, 0, v8
	v_not_b32_e32 v28, v11
	v_not_b32_e32 v29, v12
	v_not_b32_e32 v30, v13
	v_not_b32_e32 v31, v14
	;; [unrolled: 6-line block ×4, first 2 shown]
	v_cndmask_b32_e64 v10, 0, 1, s0
	v_cmp_gt_i32_e64 s0, 0, v11
	v_ashrrev_i32_e32 v24, 31, v24
	v_ashrrev_i32_e32 v25, 31, v25
	v_ashrrev_i32_e32 v26, 31, v26
	v_ashrrev_i32_e32 v27, 31, v27
	v_cndmask_b32_e64 v11, 0, 1, s0
	v_cmp_gt_i32_e64 s0, 0, v12
	v_ashrrev_i32_e32 v28, 31, v28
	v_ashrrev_i32_e32 v29, 31, v29
	v_ashrrev_i32_e32 v30, 31, v30
	v_ashrrev_i32_e32 v31, 31, v31
	;; [unrolled: 6-line block ×4, first 2 shown]
	v_cndmask_b32_e64 v14, 0, 1, s0
	v_add_co_u32 v15, s0, v15, -1
	s_delay_alu instid0(VALU_DEP_1) | instskip(SKIP_1) | instid1(VALU_DEP_1)
	v_cndmask_b32_e64 v16, 0, 1, s0
	v_cmp_gt_i32_e64 s0, 0, v17
	v_cndmask_b32_e64 v17, 0, 1, s0
	v_cmp_gt_i32_e64 s0, 0, v18
	s_delay_alu instid0(VALU_DEP_1) | instskip(SKIP_1) | instid1(VALU_DEP_1)
	v_cndmask_b32_e64 v18, 0, 1, s0
	v_cmp_gt_i32_e64 s0, 0, v19
	v_cndmask_b32_e64 v19, 0, 1, s0
	v_cmp_gt_i32_e64 s0, 0, v20
	;; [unrolled: 5-line block ×4, first 2 shown]
	s_delay_alu instid0(VALU_DEP_1)
	v_cndmask_b32_e64 v40, 0, 1, s0
	s_branch .LBB7_2
.LBB7_1:                                ;   in Loop: Header=BB7_2 Depth=1
	s_or_b32 exec_lo, exec_lo, s1
	s_add_i32 s4, s4, -1
	s_waitcnt lgkmcnt(0)
	s_cmp_lg_u32 s4, 0
	s_barrier
	buffer_gl0_inv
	s_cbranch_scc0 .LBB7_8
.LBB7_2:                                ; =>This Inner Loop Header: Depth=1
	s_and_saveexec_b32 s0, vcc_lo
	s_cbranch_execz .LBB7_4
; %bb.3:                                ;   in Loop: Header=BB7_2 Depth=1
	ds_store_b32 v0, v3
.LBB7_4:                                ;   in Loop: Header=BB7_2 Depth=1
	s_or_b32 exec_lo, exec_lo, s0
	v_cmp_ne_u32_e64 s0, 0, v6
	v_cmp_ne_u32_e64 s1, 0, v7
	s_waitcnt lgkmcnt(0)
	s_barrier
	buffer_gl0_inv
	v_xor_b32_e32 v41, s0, v5
	v_cmp_ne_u32_e64 s0, 0, v8
	v_xor_b32_e32 v42, s1, v24
	v_cmp_ne_u32_e64 s1, 0, v9
	s_delay_alu instid0(VALU_DEP_4) | instskip(NEXT) | instid1(VALU_DEP_4)
	v_and_b32_e32 v41, exec_lo, v41
	v_xor_b32_e32 v43, s0, v25
	v_cmp_ne_u32_e64 s0, 0, v10
	s_delay_alu instid0(VALU_DEP_3) | instskip(SKIP_2) | instid1(VALU_DEP_3)
	v_and_b32_e32 v41, v41, v42
	v_xor_b32_e32 v42, s1, v26
	v_cmp_ne_u32_e64 s1, 0, v11
	v_and_b32_e32 v41, v41, v43
	v_xor_b32_e32 v43, s0, v27
	v_cmp_ne_u32_e64 s0, 0, v12
	s_delay_alu instid0(VALU_DEP_3) | instskip(SKIP_2) | instid1(VALU_DEP_3)
	v_and_b32_e32 v41, v41, v42
	v_xor_b32_e32 v42, s1, v28
	v_cmp_ne_u32_e64 s1, 0, v13
	v_and_b32_e32 v41, v41, v43
	v_xor_b32_e32 v43, s0, v29
	v_cmp_ne_u32_e64 s0, 0, v14
	s_delay_alu instid0(VALU_DEP_3) | instskip(SKIP_2) | instid1(VALU_DEP_2)
	v_and_b32_e32 v41, v41, v42
	v_xor_b32_e32 v42, s1, v30
	s_mov_b32 s1, exec_lo
	v_and_b32_e32 v41, v41, v43
	s_delay_alu instid0(VALU_DEP_1) | instskip(SKIP_1) | instid1(VALU_DEP_1)
	v_and_b32_e32 v41, v41, v42
	v_xor_b32_e32 v42, s0, v31
	v_and_b32_e32 v41, v41, v42
	s_delay_alu instid0(VALU_DEP_1) | instskip(NEXT) | instid1(VALU_DEP_1)
	v_mbcnt_lo_u32_b32 v42, v41, 0
	v_cmpx_eq_u32_e32 0, v42
	s_cbranch_execz .LBB7_6
; %bb.5:                                ;   in Loop: Header=BB7_2 Depth=1
	v_bcnt_u32_b32 v41, v41, 0
	ds_add_u32 v2, v41
.LBB7_6:                                ;   in Loop: Header=BB7_2 Depth=1
	s_or_b32 exec_lo, exec_lo, s1
	v_cmp_ne_u32_e64 s0, 0, v16
	v_cmp_ne_u32_e64 s1, 0, v17
	s_delay_alu instid0(VALU_DEP_2) | instskip(SKIP_1) | instid1(VALU_DEP_3)
	v_xor_b32_e32 v41, s0, v15
	v_cmp_ne_u32_e64 s0, 0, v18
	v_xor_b32_e32 v42, s1, v32
	v_cmp_ne_u32_e64 s1, 0, v19
	s_delay_alu instid0(VALU_DEP_4) | instskip(NEXT) | instid1(VALU_DEP_4)
	v_and_b32_e32 v41, exec_lo, v41
	v_xor_b32_e32 v43, s0, v33
	v_cmp_ne_u32_e64 s0, 0, v20
	s_delay_alu instid0(VALU_DEP_3) | instskip(SKIP_2) | instid1(VALU_DEP_3)
	v_and_b32_e32 v41, v41, v42
	v_xor_b32_e32 v42, s1, v34
	v_cmp_ne_u32_e64 s1, 0, v21
	v_and_b32_e32 v41, v41, v43
	v_xor_b32_e32 v43, s0, v35
	v_cmp_ne_u32_e64 s0, 0, v22
	s_delay_alu instid0(VALU_DEP_3) | instskip(SKIP_2) | instid1(VALU_DEP_3)
	v_and_b32_e32 v41, v41, v42
	v_xor_b32_e32 v42, s1, v36
	v_cmp_ne_u32_e64 s1, 0, v23
	v_and_b32_e32 v41, v41, v43
	v_xor_b32_e32 v43, s0, v37
	v_cmp_ne_u32_e64 s0, 0, v40
	s_delay_alu instid0(VALU_DEP_3) | instskip(SKIP_2) | instid1(VALU_DEP_2)
	v_and_b32_e32 v41, v41, v42
	v_xor_b32_e32 v42, s1, v38
	s_mov_b32 s1, exec_lo
	v_and_b32_e32 v41, v41, v43
	s_delay_alu instid0(VALU_DEP_1) | instskip(SKIP_1) | instid1(VALU_DEP_1)
	v_and_b32_e32 v41, v41, v42
	v_xor_b32_e32 v42, s0, v39
	v_and_b32_e32 v41, v41, v42
	s_delay_alu instid0(VALU_DEP_1) | instskip(NEXT) | instid1(VALU_DEP_1)
	v_mbcnt_lo_u32_b32 v42, v41, 0
	v_cmpx_eq_u32_e32 0, v42
	s_cbranch_execz .LBB7_1
; %bb.7:                                ;   in Loop: Header=BB7_2 Depth=1
	v_bcnt_u32_b32 v41, v41, 0
	ds_add_u32 v4, v41
	s_branch .LBB7_1
.LBB7_8:
	s_and_saveexec_b32 s0, vcc_lo
	s_cbranch_execz .LBB7_10
; %bb.9:
	ds_load_b32 v3, v0
	v_mov_b32_e32 v2, 0
	s_delay_alu instid0(VALU_DEP_1) | instskip(NEXT) | instid1(VALU_DEP_1)
	v_lshlrev_b64 v[0:1], 2, v[1:2]
	v_add_co_u32 v0, vcc_lo, s2, v0
	s_delay_alu instid0(VALU_DEP_2)
	v_add_co_ci_u32_e32 v1, vcc_lo, s3, v1, vcc_lo
	s_waitcnt lgkmcnt(0)
	global_store_b32 v[0:1], v3, off
.LBB7_10:
	s_nop 0
	s_sendmsg sendmsg(MSG_DEALLOC_VGPRS)
	s_endpgm
	.section	.rodata,"a",@progbits
	.p2align	6, 0x0
	.amdhsa_kernel _Z6kernelI9histogramILN6hipcub23BlockHistogramAlgorithmE0EEiLj320ELj2ELj320ELj100EEvPKT0_PS4_
		.amdhsa_group_segment_fixed_size 1280
		.amdhsa_private_segment_fixed_size 0
		.amdhsa_kernarg_size 16
		.amdhsa_user_sgpr_count 15
		.amdhsa_user_sgpr_dispatch_ptr 0
		.amdhsa_user_sgpr_queue_ptr 0
		.amdhsa_user_sgpr_kernarg_segment_ptr 1
		.amdhsa_user_sgpr_dispatch_id 0
		.amdhsa_user_sgpr_private_segment_size 0
		.amdhsa_wavefront_size32 1
		.amdhsa_uses_dynamic_stack 0
		.amdhsa_enable_private_segment 0
		.amdhsa_system_sgpr_workgroup_id_x 1
		.amdhsa_system_sgpr_workgroup_id_y 0
		.amdhsa_system_sgpr_workgroup_id_z 0
		.amdhsa_system_sgpr_workgroup_info 0
		.amdhsa_system_vgpr_workitem_id 0
		.amdhsa_next_free_vgpr 44
		.amdhsa_next_free_sgpr 16
		.amdhsa_reserve_vcc 1
		.amdhsa_float_round_mode_32 0
		.amdhsa_float_round_mode_16_64 0
		.amdhsa_float_denorm_mode_32 3
		.amdhsa_float_denorm_mode_16_64 3
		.amdhsa_dx10_clamp 1
		.amdhsa_ieee_mode 1
		.amdhsa_fp16_overflow 0
		.amdhsa_workgroup_processor_mode 1
		.amdhsa_memory_ordered 1
		.amdhsa_forward_progress 0
		.amdhsa_shared_vgpr_count 0
		.amdhsa_exception_fp_ieee_invalid_op 0
		.amdhsa_exception_fp_denorm_src 0
		.amdhsa_exception_fp_ieee_div_zero 0
		.amdhsa_exception_fp_ieee_overflow 0
		.amdhsa_exception_fp_ieee_underflow 0
		.amdhsa_exception_fp_ieee_inexact 0
		.amdhsa_exception_int_div_zero 0
	.end_amdhsa_kernel
	.section	.text._Z6kernelI9histogramILN6hipcub23BlockHistogramAlgorithmE0EEiLj320ELj2ELj320ELj100EEvPKT0_PS4_,"axG",@progbits,_Z6kernelI9histogramILN6hipcub23BlockHistogramAlgorithmE0EEiLj320ELj2ELj320ELj100EEvPKT0_PS4_,comdat
.Lfunc_end7:
	.size	_Z6kernelI9histogramILN6hipcub23BlockHistogramAlgorithmE0EEiLj320ELj2ELj320ELj100EEvPKT0_PS4_, .Lfunc_end7-_Z6kernelI9histogramILN6hipcub23BlockHistogramAlgorithmE0EEiLj320ELj2ELj320ELj100EEvPKT0_PS4_
                                        ; -- End function
	.section	.AMDGPU.csdata,"",@progbits
; Kernel info:
; codeLenInByte = 1172
; NumSgprs: 18
; NumVgprs: 44
; ScratchSize: 0
; MemoryBound: 0
; FloatMode: 240
; IeeeMode: 1
; LDSByteSize: 1280 bytes/workgroup (compile time only)
; SGPRBlocks: 2
; VGPRBlocks: 5
; NumSGPRsForWavesPerEU: 18
; NumVGPRsForWavesPerEU: 44
; Occupancy: 15
; WaveLimiterHint : 0
; COMPUTE_PGM_RSRC2:SCRATCH_EN: 0
; COMPUTE_PGM_RSRC2:USER_SGPR: 15
; COMPUTE_PGM_RSRC2:TRAP_HANDLER: 0
; COMPUTE_PGM_RSRC2:TGID_X_EN: 1
; COMPUTE_PGM_RSRC2:TGID_Y_EN: 0
; COMPUTE_PGM_RSRC2:TGID_Z_EN: 0
; COMPUTE_PGM_RSRC2:TIDIG_COMP_CNT: 0
	.section	.text._Z6kernelI9histogramILN6hipcub23BlockHistogramAlgorithmE0EEiLj320ELj3ELj320ELj100EEvPKT0_PS4_,"axG",@progbits,_Z6kernelI9histogramILN6hipcub23BlockHistogramAlgorithmE0EEiLj320ELj3ELj320ELj100EEvPKT0_PS4_,comdat
	.protected	_Z6kernelI9histogramILN6hipcub23BlockHistogramAlgorithmE0EEiLj320ELj3ELj320ELj100EEvPKT0_PS4_ ; -- Begin function _Z6kernelI9histogramILN6hipcub23BlockHistogramAlgorithmE0EEiLj320ELj3ELj320ELj100EEvPKT0_PS4_
	.globl	_Z6kernelI9histogramILN6hipcub23BlockHistogramAlgorithmE0EEiLj320ELj3ELj320ELj100EEvPKT0_PS4_
	.p2align	8
	.type	_Z6kernelI9histogramILN6hipcub23BlockHistogramAlgorithmE0EEiLj320ELj3ELj320ELj100EEvPKT0_PS4_,@function
_Z6kernelI9histogramILN6hipcub23BlockHistogramAlgorithmE0EEiLj320ELj3ELj320ELj100EEvPKT0_PS4_: ; @_Z6kernelI9histogramILN6hipcub23BlockHistogramAlgorithmE0EEiLj320ELj3ELj320ELj100EEvPKT0_PS4_
; %bb.0:
	s_load_b128 s[8:11], s[0:1], 0x0
	v_mad_u64_u32 v[1:2], null, 0x140, s15, v[0:1]
	s_delay_alu instid0(VALU_DEP_1) | instskip(NEXT) | instid1(VALU_DEP_1)
	v_lshl_add_u32 v2, v1, 1, v1
	v_dual_mov_b32 v3, 0 :: v_dual_add_nc_u32 v6, 1, v2
	s_delay_alu instid0(VALU_DEP_1) | instskip(SKIP_2) | instid1(VALU_DEP_2)
	v_lshlrev_b64 v[4:5], 2, v[2:3]
	v_dual_mov_b32 v7, v3 :: v_dual_add_nc_u32 v2, 2, v2
	s_waitcnt lgkmcnt(0)
	v_add_co_u32 v4, vcc_lo, s8, v4
	s_delay_alu instid0(VALU_DEP_3) | instskip(SKIP_3) | instid1(VALU_DEP_2)
	v_add_co_ci_u32_e32 v5, vcc_lo, s9, v5, vcc_lo
	global_load_b32 v8, v[4:5], off
	v_lshlrev_b64 v[4:5], 2, v[6:7]
	v_lshlrev_b64 v[6:7], 2, v[2:3]
	v_add_co_u32 v4, vcc_lo, s8, v4
	s_delay_alu instid0(VALU_DEP_3)
	v_add_co_ci_u32_e32 v5, vcc_lo, s9, v5, vcc_lo
	global_load_b32 v9, v[4:5], off
	v_add_co_u32 v4, vcc_lo, s8, v6
	v_add_co_ci_u32_e32 v5, vcc_lo, s9, v7, vcc_lo
	v_cmp_gt_u32_e32 vcc_lo, 0x140, v0
	v_lshlrev_b32_e32 v0, 2, v0
	s_movk_i32 s8, 0x64
	global_load_b32 v5, v[4:5], off
	s_waitcnt vmcnt(2)
	v_and_b32_e32 v6, 1, v8
	v_lshlrev_b32_e32 v10, 30, v8
	v_lshlrev_b32_e32 v11, 29, v8
	;; [unrolled: 1-line block ×4, first 2 shown]
	v_add_co_u32 v6, s0, v6, -1
	s_delay_alu instid0(VALU_DEP_1)
	v_cndmask_b32_e64 v7, 0, 1, s0
	v_cmp_gt_i32_e64 s0, 0, v10
	v_lshlrev_b32_e32 v14, 26, v8
	v_lshlrev_b32_e32 v15, 25, v8
	;; [unrolled: 1-line block ×5, first 2 shown]
	v_cndmask_b32_e64 v8, 0, 1, s0
	v_cmp_gt_i32_e64 s0, 0, v11
	s_waitcnt vmcnt(1)
	v_and_b32_e32 v26, 1, v9
	v_lshlrev_b32_e32 v27, 30, v9
	v_lshlrev_b32_e32 v28, 29, v9
	;; [unrolled: 1-line block ×9, first 2 shown]
	v_cndmask_b32_e64 v9, 0, 1, s0
	v_cmp_gt_i32_e64 s0, 0, v12
	v_not_b32_e32 v18, v10
	v_not_b32_e32 v19, v11
	v_not_b32_e32 v20, v12
	v_not_b32_e32 v22, v14
	v_cndmask_b32_e64 v10, 0, 1, s0
	v_cmp_gt_i32_e64 s0, 0, v13
	v_not_b32_e32 v24, v16
	v_not_b32_e32 v21, v13
	v_not_b32_e32 v23, v15
	v_not_b32_e32 v25, v17
	;; [unrolled: 6-line block ×3, first 2 shown]
	v_cndmask_b32_e64 v12, 0, 1, s0
	v_cmp_gt_i32_e64 s0, 0, v15
	v_not_b32_e32 v47, v31
	s_waitcnt vmcnt(0)
	v_and_b32_e32 v35, 1, v5
	v_not_b32_e32 v48, v32
	v_lshlrev_b32_e32 v36, 30, v5
	v_cndmask_b32_e64 v13, 0, 1, s0
	v_cmp_gt_i32_e64 s0, 0, v16
	v_ashrrev_i32_e32 v16, 31, v18
	v_ashrrev_i32_e32 v18, 31, v20
	;; [unrolled: 1-line block ×4, first 2 shown]
	v_add_co_u32 v24, s6, v26, -1
	v_cndmask_b32_e64 v14, 0, 1, s0
	v_cmp_gt_i32_e64 s0, 0, v17
	v_ashrrev_i32_e32 v17, 31, v19
	v_ashrrev_i32_e32 v19, 31, v21
	v_ashrrev_i32_e32 v21, 31, v23
	v_ashrrev_i32_e32 v23, 31, v25
	v_cndmask_b32_e64 v25, 0, 1, s6
	v_cmp_gt_i32_e64 s6, 0, v27
	v_not_b32_e32 v49, v33
	v_not_b32_e32 v50, v34
	v_lshlrev_b32_e32 v53, 29, v5
	v_lshlrev_b32_e32 v37, 28, v5
	v_cndmask_b32_e64 v26, 0, 1, s6
	v_cmp_gt_i32_e64 s6, 0, v28
	v_lshlrev_b32_e32 v38, 27, v5
	v_lshlrev_b32_e32 v39, 26, v5
	;; [unrolled: 1-line block ×4, first 2 shown]
	v_cndmask_b32_e64 v27, 0, 1, s6
	v_cmp_gt_i32_e64 s6, 0, v29
	v_lshlrev_b32_e32 v42, 23, v5
	v_not_b32_e32 v51, v36
	v_not_b32_e32 v52, v53
	;; [unrolled: 1-line block ×3, first 2 shown]
	v_cndmask_b32_e64 v28, 0, 1, s6
	v_cmp_gt_i32_e64 s6, 0, v30
	v_not_b32_e32 v55, v38
	v_not_b32_e32 v56, v39
	;; [unrolled: 1-line block ×4, first 2 shown]
	v_cndmask_b32_e64 v29, 0, 1, s6
	v_cmp_gt_i32_e64 s6, 0, v31
	v_not_b32_e32 v59, v42
	v_lshlrev_b32_e32 v5, 2, v5
	v_cndmask_b32_e64 v15, 0, 1, s0
	v_cmp_gt_i32_e64 s0, 0, v37
	v_cndmask_b32_e64 v30, 0, 1, s6
	v_cmp_gt_i32_e64 s6, 0, v32
	v_cmp_gt_i32_e64 s1, 0, v38
	;; [unrolled: 1-line block ×5, first 2 shown]
	v_cndmask_b32_e64 v31, 0, 1, s6
	v_cmp_gt_i32_e64 s6, 0, v33
	v_cmp_gt_i32_e64 s5, 0, v42
	v_ashrrev_i32_e32 v37, 31, v43
	v_ashrrev_i32_e32 v38, 31, v44
	;; [unrolled: 1-line block ×3, first 2 shown]
	v_cndmask_b32_e64 v32, 0, 1, s6
	v_cmp_gt_i32_e64 s6, 0, v34
	v_ashrrev_i32_e32 v40, 31, v46
	v_ashrrev_i32_e32 v41, 31, v47
	;; [unrolled: 1-line block ×4, first 2 shown]
	v_cndmask_b32_e64 v33, 0, 1, s6
	v_add_co_u32 v34, s6, v35, -1
	s_delay_alu instid0(VALU_DEP_1)
	v_cndmask_b32_e64 v35, 0, 1, s6
	v_cmp_gt_i32_e64 s6, 0, v36
	v_ashrrev_i32_e32 v44, 31, v50
	v_ashrrev_i32_e32 v45, 31, v51
	;; [unrolled: 1-line block ×4, first 2 shown]
	v_cndmask_b32_e64 v36, 0, 1, s6
	v_cmp_gt_i32_e64 s6, 0, v53
	v_ashrrev_i32_e32 v48, 31, v55
	v_ashrrev_i32_e32 v49, 31, v56
	;; [unrolled: 1-line block ×5, first 2 shown]
	v_cndmask_b32_e64 v53, 0, 1, s6
	s_branch .LBB8_2
.LBB8_1:                                ;   in Loop: Header=BB8_2 Depth=1
	s_or_b32 exec_lo, exec_lo, s7
	s_add_i32 s8, s8, -1
	s_waitcnt lgkmcnt(0)
	s_cmp_lg_u32 s8, 0
	s_barrier
	buffer_gl0_inv
	s_cbranch_scc0 .LBB8_10
.LBB8_2:                                ; =>This Inner Loop Header: Depth=1
	s_and_saveexec_b32 s6, vcc_lo
	s_cbranch_execz .LBB8_4
; %bb.3:                                ;   in Loop: Header=BB8_2 Depth=1
	ds_store_b32 v0, v3
.LBB8_4:                                ;   in Loop: Header=BB8_2 Depth=1
	s_or_b32 exec_lo, exec_lo, s6
	v_cmp_ne_u32_e64 s6, 0, v7
	v_cmp_ne_u32_e64 s7, 0, v8
	s_waitcnt lgkmcnt(0)
	s_barrier
	buffer_gl0_inv
	v_xor_b32_e32 v54, s6, v6
	v_cmp_ne_u32_e64 s6, 0, v9
	v_xor_b32_e32 v55, s7, v16
	v_cmp_ne_u32_e64 s7, 0, v10
	s_delay_alu instid0(VALU_DEP_4) | instskip(NEXT) | instid1(VALU_DEP_4)
	v_and_b32_e32 v54, exec_lo, v54
	v_xor_b32_e32 v56, s6, v17
	v_cmp_ne_u32_e64 s6, 0, v11
	s_delay_alu instid0(VALU_DEP_3) | instskip(SKIP_2) | instid1(VALU_DEP_3)
	v_and_b32_e32 v54, v54, v55
	v_xor_b32_e32 v55, s7, v18
	v_cmp_ne_u32_e64 s7, 0, v12
	v_and_b32_e32 v54, v54, v56
	v_xor_b32_e32 v56, s6, v19
	v_cmp_ne_u32_e64 s6, 0, v13
	s_delay_alu instid0(VALU_DEP_3) | instskip(SKIP_2) | instid1(VALU_DEP_3)
	v_and_b32_e32 v54, v54, v55
	v_xor_b32_e32 v55, s7, v20
	v_cmp_ne_u32_e64 s7, 0, v14
	v_and_b32_e32 v54, v54, v56
	v_xor_b32_e32 v56, s6, v21
	v_cmp_ne_u32_e64 s6, 0, v15
	s_delay_alu instid0(VALU_DEP_3) | instskip(SKIP_2) | instid1(VALU_DEP_2)
	v_and_b32_e32 v54, v54, v55
	v_xor_b32_e32 v55, s7, v22
	s_mov_b32 s7, exec_lo
	v_and_b32_e32 v54, v54, v56
	s_delay_alu instid0(VALU_DEP_1) | instskip(SKIP_1) | instid1(VALU_DEP_1)
	v_and_b32_e32 v54, v54, v55
	v_xor_b32_e32 v55, s6, v23
	v_and_b32_e32 v54, v54, v55
	s_delay_alu instid0(VALU_DEP_1) | instskip(NEXT) | instid1(VALU_DEP_1)
	v_mbcnt_lo_u32_b32 v55, v54, 0
	v_cmpx_eq_u32_e32 0, v55
	s_cbranch_execz .LBB8_6
; %bb.5:                                ;   in Loop: Header=BB8_2 Depth=1
	v_bcnt_u32_b32 v54, v54, 0
	ds_add_u32 v2, v54
.LBB8_6:                                ;   in Loop: Header=BB8_2 Depth=1
	s_or_b32 exec_lo, exec_lo, s7
	v_cmp_ne_u32_e64 s6, 0, v25
	v_cmp_ne_u32_e64 s7, 0, v26
	s_delay_alu instid0(VALU_DEP_2) | instskip(SKIP_1) | instid1(VALU_DEP_3)
	v_xor_b32_e32 v54, s6, v24
	v_cmp_ne_u32_e64 s6, 0, v27
	v_xor_b32_e32 v55, s7, v37
	v_cmp_ne_u32_e64 s7, 0, v28
	s_delay_alu instid0(VALU_DEP_4) | instskip(NEXT) | instid1(VALU_DEP_4)
	v_and_b32_e32 v54, exec_lo, v54
	v_xor_b32_e32 v56, s6, v38
	v_cmp_ne_u32_e64 s6, 0, v29
	s_delay_alu instid0(VALU_DEP_3) | instskip(SKIP_2) | instid1(VALU_DEP_3)
	v_and_b32_e32 v54, v54, v55
	v_xor_b32_e32 v55, s7, v39
	v_cmp_ne_u32_e64 s7, 0, v30
	v_and_b32_e32 v54, v54, v56
	v_xor_b32_e32 v56, s6, v40
	v_cmp_ne_u32_e64 s6, 0, v31
	s_delay_alu instid0(VALU_DEP_3) | instskip(SKIP_2) | instid1(VALU_DEP_3)
	v_and_b32_e32 v54, v54, v55
	v_xor_b32_e32 v55, s7, v41
	v_cmp_ne_u32_e64 s7, 0, v32
	v_and_b32_e32 v54, v54, v56
	v_xor_b32_e32 v56, s6, v42
	v_cmp_ne_u32_e64 s6, 0, v33
	s_delay_alu instid0(VALU_DEP_3) | instskip(SKIP_2) | instid1(VALU_DEP_2)
	v_and_b32_e32 v54, v54, v55
	v_xor_b32_e32 v55, s7, v43
	s_mov_b32 s7, exec_lo
	v_and_b32_e32 v54, v54, v56
	s_delay_alu instid0(VALU_DEP_1) | instskip(SKIP_1) | instid1(VALU_DEP_1)
	v_and_b32_e32 v54, v54, v55
	v_xor_b32_e32 v55, s6, v44
	v_and_b32_e32 v54, v54, v55
	s_delay_alu instid0(VALU_DEP_1) | instskip(NEXT) | instid1(VALU_DEP_1)
	v_mbcnt_lo_u32_b32 v55, v54, 0
	v_cmpx_eq_u32_e32 0, v55
	s_cbranch_execz .LBB8_8
; %bb.7:                                ;   in Loop: Header=BB8_2 Depth=1
	v_bcnt_u32_b32 v54, v54, 0
	ds_add_u32 v4, v54
.LBB8_8:                                ;   in Loop: Header=BB8_2 Depth=1
	s_or_b32 exec_lo, exec_lo, s7
	v_cmp_ne_u32_e64 s6, 0, v35
	v_cmp_ne_u32_e64 s7, 0, v36
	v_cndmask_b32_e64 v55, 0, 1, s0
	v_cndmask_b32_e64 v57, 0, 1, s1
	s_delay_alu instid0(VALU_DEP_4) | instskip(SKIP_2) | instid1(VALU_DEP_4)
	v_xor_b32_e32 v54, s6, v34
	v_cmp_ne_u32_e64 s6, 0, v53
	v_xor_b32_e32 v56, s7, v45
	v_cmp_ne_u32_e64 s7, 0, v57
	v_cndmask_b32_e64 v57, 0, 1, s3
	v_and_b32_e32 v54, exec_lo, v54
	v_xor_b32_e32 v58, s6, v46
	v_cmp_ne_u32_e64 s6, 0, v55
	v_cndmask_b32_e64 v55, 0, 1, s2
	s_delay_alu instid0(VALU_DEP_4) | instskip(NEXT) | instid1(VALU_DEP_3)
	v_and_b32_e32 v54, v54, v56
	v_xor_b32_e32 v56, s6, v47
	s_delay_alu instid0(VALU_DEP_3) | instskip(SKIP_1) | instid1(VALU_DEP_4)
	v_cmp_ne_u32_e64 s6, 0, v55
	v_xor_b32_e32 v55, s7, v48
	v_and_b32_e32 v54, v54, v58
	v_cmp_ne_u32_e64 s7, 0, v57
	s_delay_alu instid0(VALU_DEP_4) | instskip(NEXT) | instid1(VALU_DEP_3)
	v_xor_b32_e32 v57, s6, v49
	v_and_b32_e32 v54, v54, v56
	v_cndmask_b32_e64 v56, 0, 1, s4
	s_delay_alu instid0(VALU_DEP_2) | instskip(NEXT) | instid1(VALU_DEP_2)
	v_and_b32_e32 v54, v54, v55
	v_cmp_ne_u32_e64 s6, 0, v56
	v_xor_b32_e32 v55, s7, v50
	v_cndmask_b32_e64 v56, 0, 1, s5
	s_mov_b32 s7, exec_lo
	v_and_b32_e32 v54, v54, v57
	v_xor_b32_e32 v57, s6, v51
	s_delay_alu instid0(VALU_DEP_3) | instskip(NEXT) | instid1(VALU_DEP_3)
	v_cmp_ne_u32_e64 s6, 0, v56
	v_and_b32_e32 v54, v54, v55
	s_delay_alu instid0(VALU_DEP_2) | instskip(NEXT) | instid1(VALU_DEP_2)
	v_xor_b32_e32 v55, s6, v52
	v_and_b32_e32 v54, v54, v57
	s_delay_alu instid0(VALU_DEP_1) | instskip(NEXT) | instid1(VALU_DEP_1)
	v_and_b32_e32 v54, v54, v55
	v_mbcnt_lo_u32_b32 v55, v54, 0
	s_delay_alu instid0(VALU_DEP_1)
	v_cmpx_eq_u32_e32 0, v55
	s_cbranch_execz .LBB8_1
; %bb.9:                                ;   in Loop: Header=BB8_2 Depth=1
	v_bcnt_u32_b32 v54, v54, 0
	ds_add_u32 v5, v54
	s_branch .LBB8_1
.LBB8_10:
	s_and_saveexec_b32 s0, vcc_lo
	s_cbranch_execz .LBB8_12
; %bb.11:
	ds_load_b32 v3, v0
	v_mov_b32_e32 v2, 0
	s_delay_alu instid0(VALU_DEP_1) | instskip(NEXT) | instid1(VALU_DEP_1)
	v_lshlrev_b64 v[0:1], 2, v[1:2]
	v_add_co_u32 v0, vcc_lo, s10, v0
	s_delay_alu instid0(VALU_DEP_2)
	v_add_co_ci_u32_e32 v1, vcc_lo, s11, v1, vcc_lo
	s_waitcnt lgkmcnt(0)
	global_store_b32 v[0:1], v3, off
.LBB8_12:
	s_nop 0
	s_sendmsg sendmsg(MSG_DEALLOC_VGPRS)
	s_endpgm
	.section	.rodata,"a",@progbits
	.p2align	6, 0x0
	.amdhsa_kernel _Z6kernelI9histogramILN6hipcub23BlockHistogramAlgorithmE0EEiLj320ELj3ELj320ELj100EEvPKT0_PS4_
		.amdhsa_group_segment_fixed_size 1280
		.amdhsa_private_segment_fixed_size 0
		.amdhsa_kernarg_size 16
		.amdhsa_user_sgpr_count 15
		.amdhsa_user_sgpr_dispatch_ptr 0
		.amdhsa_user_sgpr_queue_ptr 0
		.amdhsa_user_sgpr_kernarg_segment_ptr 1
		.amdhsa_user_sgpr_dispatch_id 0
		.amdhsa_user_sgpr_private_segment_size 0
		.amdhsa_wavefront_size32 1
		.amdhsa_uses_dynamic_stack 0
		.amdhsa_enable_private_segment 0
		.amdhsa_system_sgpr_workgroup_id_x 1
		.amdhsa_system_sgpr_workgroup_id_y 0
		.amdhsa_system_sgpr_workgroup_id_z 0
		.amdhsa_system_sgpr_workgroup_info 0
		.amdhsa_system_vgpr_workitem_id 0
		.amdhsa_next_free_vgpr 60
		.amdhsa_next_free_sgpr 16
		.amdhsa_reserve_vcc 1
		.amdhsa_float_round_mode_32 0
		.amdhsa_float_round_mode_16_64 0
		.amdhsa_float_denorm_mode_32 3
		.amdhsa_float_denorm_mode_16_64 3
		.amdhsa_dx10_clamp 1
		.amdhsa_ieee_mode 1
		.amdhsa_fp16_overflow 0
		.amdhsa_workgroup_processor_mode 1
		.amdhsa_memory_ordered 1
		.amdhsa_forward_progress 0
		.amdhsa_shared_vgpr_count 0
		.amdhsa_exception_fp_ieee_invalid_op 0
		.amdhsa_exception_fp_denorm_src 0
		.amdhsa_exception_fp_ieee_div_zero 0
		.amdhsa_exception_fp_ieee_overflow 0
		.amdhsa_exception_fp_ieee_underflow 0
		.amdhsa_exception_fp_ieee_inexact 0
		.amdhsa_exception_int_div_zero 0
	.end_amdhsa_kernel
	.section	.text._Z6kernelI9histogramILN6hipcub23BlockHistogramAlgorithmE0EEiLj320ELj3ELj320ELj100EEvPKT0_PS4_,"axG",@progbits,_Z6kernelI9histogramILN6hipcub23BlockHistogramAlgorithmE0EEiLj320ELj3ELj320ELj100EEvPKT0_PS4_,comdat
.Lfunc_end8:
	.size	_Z6kernelI9histogramILN6hipcub23BlockHistogramAlgorithmE0EEiLj320ELj3ELj320ELj100EEvPKT0_PS4_, .Lfunc_end8-_Z6kernelI9histogramILN6hipcub23BlockHistogramAlgorithmE0EEiLj320ELj3ELj320ELj100EEvPKT0_PS4_
                                        ; -- End function
	.section	.AMDGPU.csdata,"",@progbits
; Kernel info:
; codeLenInByte = 1712
; NumSgprs: 18
; NumVgprs: 60
; ScratchSize: 0
; MemoryBound: 0
; FloatMode: 240
; IeeeMode: 1
; LDSByteSize: 1280 bytes/workgroup (compile time only)
; SGPRBlocks: 2
; VGPRBlocks: 7
; NumSGPRsForWavesPerEU: 18
; NumVGPRsForWavesPerEU: 60
; Occupancy: 15
; WaveLimiterHint : 0
; COMPUTE_PGM_RSRC2:SCRATCH_EN: 0
; COMPUTE_PGM_RSRC2:USER_SGPR: 15
; COMPUTE_PGM_RSRC2:TRAP_HANDLER: 0
; COMPUTE_PGM_RSRC2:TGID_X_EN: 1
; COMPUTE_PGM_RSRC2:TGID_Y_EN: 0
; COMPUTE_PGM_RSRC2:TGID_Z_EN: 0
; COMPUTE_PGM_RSRC2:TIDIG_COMP_CNT: 0
	.section	.text._Z6kernelI9histogramILN6hipcub23BlockHistogramAlgorithmE0EEiLj320ELj4ELj320ELj100EEvPKT0_PS4_,"axG",@progbits,_Z6kernelI9histogramILN6hipcub23BlockHistogramAlgorithmE0EEiLj320ELj4ELj320ELj100EEvPKT0_PS4_,comdat
	.protected	_Z6kernelI9histogramILN6hipcub23BlockHistogramAlgorithmE0EEiLj320ELj4ELj320ELj100EEvPKT0_PS4_ ; -- Begin function _Z6kernelI9histogramILN6hipcub23BlockHistogramAlgorithmE0EEiLj320ELj4ELj320ELj100EEvPKT0_PS4_
	.globl	_Z6kernelI9histogramILN6hipcub23BlockHistogramAlgorithmE0EEiLj320ELj4ELj320ELj100EEvPKT0_PS4_
	.p2align	8
	.type	_Z6kernelI9histogramILN6hipcub23BlockHistogramAlgorithmE0EEiLj320ELj4ELj320ELj100EEvPKT0_PS4_,@function
_Z6kernelI9histogramILN6hipcub23BlockHistogramAlgorithmE0EEiLj320ELj4ELj320ELj100EEvPKT0_PS4_: ; @_Z6kernelI9histogramILN6hipcub23BlockHistogramAlgorithmE0EEiLj320ELj4ELj320ELj100EEvPKT0_PS4_
; %bb.0:
	s_load_b128 s[24:27], s[0:1], 0x0
	v_mad_u64_u32 v[1:2], null, 0x140, s15, v[0:1]
	v_mov_b32_e32 v3, 0
	s_movk_i32 s30, 0x64
	s_delay_alu instid0(VALU_DEP_2) | instskip(NEXT) | instid1(VALU_DEP_1)
	v_lshlrev_b32_e32 v2, 2, v1
	v_lshlrev_b64 v[4:5], 2, v[2:3]
	s_waitcnt lgkmcnt(0)
	s_delay_alu instid0(VALU_DEP_1) | instskip(NEXT) | instid1(VALU_DEP_2)
	v_add_co_u32 v4, vcc_lo, s24, v4
	v_add_co_ci_u32_e32 v5, vcc_lo, s25, v5, vcc_lo
	v_cmp_gt_u32_e32 vcc_lo, 0x140, v0
	v_lshlrev_b32_e32 v0, 2, v0
	global_load_b128 v[4:7], v[4:5], off
	s_waitcnt vmcnt(0)
	v_and_b32_e32 v9, 1, v4
	v_lshlrev_b32_e32 v11, 30, v4
	v_lshlrev_b32_e32 v10, 29, v5
	;; [unrolled: 1-line block ×4, first 2 shown]
	v_add_co_u32 v9, s24, v9, -1
	s_delay_alu instid0(VALU_DEP_4)
	v_cmp_gt_i32_e64 s1, 0, v10
	v_not_b32_e32 v53, v10
	v_cndmask_b32_e64 v10, 0, 1, s24
	v_cmp_gt_i32_e64 s24, 0, v11
	v_not_b32_e32 v43, v11
	v_lshlrev_b32_e32 v14, 27, v4
	v_not_b32_e32 v44, v12
	v_lshlrev_b32_e32 v15, 26, v4
	v_cndmask_b32_e64 v11, 0, 1, s24
	v_cmp_gt_i32_e64 s24, 0, v12
	v_not_b32_e32 v45, v13
	v_lshlrev_b32_e32 v16, 25, v4
	v_not_b32_e32 v46, v14
	v_lshlrev_b32_e32 v17, 24, v4
	;; [unrolled: 6-line block ×3, first 2 shown]
	v_cndmask_b32_e64 v13, 0, 1, s24
	v_cmp_gt_i32_e64 s24, 0, v14
	v_lshlrev_b32_e32 v19, 28, v5
	v_lshlrev_b32_e32 v20, 27, v5
	v_lshlrev_b32_e32 v21, 26, v5
	v_lshlrev_b32_e32 v22, 25, v5
	v_cndmask_b32_e64 v14, 0, 1, s24
	v_cmp_gt_i32_e64 s24, 0, v15
	v_lshlrev_b32_e32 v23, 24, v5
	v_lshlrev_b32_e32 v24, 23, v5
	v_lshlrev_b32_e32 v26, 30, v6
	v_lshlrev_b32_e32 v27, 29, v6
	;; [unrolled: 6-line block ×4, first 2 shown]
	v_lshlrev_b32_e32 v37, 28, v7
	v_lshlrev_b32_e32 v38, 27, v7
	;; [unrolled: 1-line block ×6, first 2 shown]
	v_and_b32_e32 v51, 1, v5
	v_not_b32_e32 v49, v17
	v_cndmask_b32_e64 v17, 0, 1, s24
	v_cmp_gt_i32_e64 s24, 0, v18
	v_and_b32_e32 v25, 1, v6
	v_and_b32_e32 v34, 1, v7
	v_not_b32_e32 v50, v18
	v_not_b32_e32 v52, v8
	v_not_b32_e32 v54, v19
	v_not_b32_e32 v55, v20
	v_not_b32_e32 v56, v21
	v_not_b32_e32 v57, v22
	v_not_b32_e32 v58, v23
	v_not_b32_e32 v59, v24
	v_not_b32_e32 v60, v26
	v_not_b32_e32 v61, v27
	v_not_b32_e32 v62, v28
	v_not_b32_e32 v63, v29
	v_not_b32_e32 v64, v30
	v_not_b32_e32 v65, v31
	v_not_b32_e32 v66, v32
	v_not_b32_e32 v67, v33
	v_not_b32_e32 v68, v35
	v_not_b32_e32 v69, v36
	v_not_b32_e32 v70, v37
	v_not_b32_e32 v71, v38
	v_not_b32_e32 v72, v39
	v_not_b32_e32 v73, v40
	v_not_b32_e32 v74, v41
	v_not_b32_e32 v75, v42
	v_cndmask_b32_e64 v18, 0, 1, s24
	v_add_co_u32 v51, s24, v51, -1
	v_lshlrev_b32_e32 v2, 2, v4
	v_lshlrev_b32_e32 v4, 2, v5
	;; [unrolled: 1-line block ×4, first 2 shown]
	v_cmp_gt_i32_e64 s0, 0, v8
	v_cmp_gt_i32_e64 s2, 0, v19
	;; [unrolled: 1-line block ×7, first 2 shown]
	v_add_co_u32 v7, s28, v25, -1
	v_cmp_gt_i32_e64 s8, 0, v26
	v_cmp_gt_i32_e64 s9, 0, v27
	;; [unrolled: 1-line block ×8, first 2 shown]
	v_add_co_u32 v8, s29, v34, -1
	v_cmp_gt_i32_e64 s16, 0, v35
	v_cmp_gt_i32_e64 s17, 0, v36
	;; [unrolled: 1-line block ×8, first 2 shown]
	v_ashrrev_i32_e32 v19, 31, v43
	v_ashrrev_i32_e32 v20, 31, v44
	;; [unrolled: 1-line block ×32, first 2 shown]
	v_cndmask_b32_e64 v52, 0, 1, s24
	s_branch .LBB9_2
.LBB9_1:                                ;   in Loop: Header=BB9_2 Depth=1
	s_or_b32 exec_lo, exec_lo, s25
	s_add_i32 s30, s30, -1
	s_waitcnt lgkmcnt(0)
	s_cmp_lg_u32 s30, 0
	s_barrier
	buffer_gl0_inv
	s_cbranch_scc0 .LBB9_12
.LBB9_2:                                ; =>This Inner Loop Header: Depth=1
	s_and_saveexec_b32 s24, vcc_lo
	s_cbranch_execz .LBB9_4
; %bb.3:                                ;   in Loop: Header=BB9_2 Depth=1
	ds_store_b32 v0, v3
.LBB9_4:                                ;   in Loop: Header=BB9_2 Depth=1
	s_or_b32 exec_lo, exec_lo, s24
	v_cmp_ne_u32_e64 s24, 0, v10
	v_cmp_ne_u32_e64 s25, 0, v11
	s_waitcnt lgkmcnt(0)
	s_barrier
	buffer_gl0_inv
	v_xor_b32_e32 v53, s24, v9
	v_cmp_ne_u32_e64 s24, 0, v12
	v_xor_b32_e32 v54, s25, v19
	v_cmp_ne_u32_e64 s25, 0, v13
	s_delay_alu instid0(VALU_DEP_4) | instskip(NEXT) | instid1(VALU_DEP_4)
	v_and_b32_e32 v53, exec_lo, v53
	v_xor_b32_e32 v55, s24, v20
	v_cmp_ne_u32_e64 s24, 0, v14
	s_delay_alu instid0(VALU_DEP_3) | instskip(SKIP_2) | instid1(VALU_DEP_3)
	v_and_b32_e32 v53, v53, v54
	v_xor_b32_e32 v54, s25, v21
	v_cmp_ne_u32_e64 s25, 0, v15
	v_and_b32_e32 v53, v53, v55
	v_xor_b32_e32 v55, s24, v22
	v_cmp_ne_u32_e64 s24, 0, v16
	s_delay_alu instid0(VALU_DEP_3) | instskip(SKIP_2) | instid1(VALU_DEP_3)
	v_and_b32_e32 v53, v53, v54
	v_xor_b32_e32 v54, s25, v23
	v_cmp_ne_u32_e64 s25, 0, v17
	v_and_b32_e32 v53, v53, v55
	v_xor_b32_e32 v55, s24, v24
	v_cmp_ne_u32_e64 s24, 0, v18
	s_delay_alu instid0(VALU_DEP_3) | instskip(SKIP_2) | instid1(VALU_DEP_2)
	v_and_b32_e32 v53, v53, v54
	v_xor_b32_e32 v54, s25, v25
	s_mov_b32 s25, exec_lo
	v_and_b32_e32 v53, v53, v55
	s_delay_alu instid0(VALU_DEP_1) | instskip(SKIP_1) | instid1(VALU_DEP_1)
	v_and_b32_e32 v53, v53, v54
	v_xor_b32_e32 v54, s24, v26
	v_and_b32_e32 v53, v53, v54
	s_delay_alu instid0(VALU_DEP_1) | instskip(NEXT) | instid1(VALU_DEP_1)
	v_mbcnt_lo_u32_b32 v54, v53, 0
	v_cmpx_eq_u32_e32 0, v54
	s_cbranch_execz .LBB9_6
; %bb.5:                                ;   in Loop: Header=BB9_2 Depth=1
	v_bcnt_u32_b32 v53, v53, 0
	ds_add_u32 v2, v53
.LBB9_6:                                ;   in Loop: Header=BB9_2 Depth=1
	s_or_b32 exec_lo, exec_lo, s25
	v_cmp_ne_u32_e64 s24, 0, v52
	v_cndmask_b32_e64 v53, 0, 1, s0
	v_cndmask_b32_e64 v54, 0, 1, s1
	;; [unrolled: 1-line block ×3, first 2 shown]
	s_delay_alu instid0(VALU_DEP_4) | instskip(NEXT) | instid1(VALU_DEP_4)
	v_xor_b32_e32 v55, s24, v51
	v_cmp_ne_u32_e64 s24, 0, v53
	v_cndmask_b32_e64 v53, 0, 1, s2
	v_cmp_ne_u32_e64 s25, 0, v54
	s_delay_alu instid0(VALU_DEP_4) | instskip(NEXT) | instid1(VALU_DEP_4)
	v_and_b32_e32 v54, exec_lo, v55
	v_xor_b32_e32 v55, s24, v27
	s_delay_alu instid0(VALU_DEP_4) | instskip(NEXT) | instid1(VALU_DEP_4)
	v_cmp_ne_u32_e64 s24, 0, v53
	v_xor_b32_e32 v53, s25, v28
	v_cmp_ne_u32_e64 s25, 0, v56
	s_delay_alu instid0(VALU_DEP_4) | instskip(SKIP_2) | instid1(VALU_DEP_3)
	v_and_b32_e32 v54, v54, v55
	v_cndmask_b32_e64 v55, 0, 1, s4
	v_xor_b32_e32 v56, s24, v29
	v_and_b32_e32 v53, v54, v53
	v_cndmask_b32_e64 v54, 0, 1, s5
	s_delay_alu instid0(VALU_DEP_4) | instskip(SKIP_1) | instid1(VALU_DEP_4)
	v_cmp_ne_u32_e64 s24, 0, v55
	v_xor_b32_e32 v55, s25, v30
	v_and_b32_e32 v53, v53, v56
	v_cndmask_b32_e64 v56, 0, 1, s6
	v_cmp_ne_u32_e64 s25, 0, v54
	v_xor_b32_e32 v54, s24, v31
	s_delay_alu instid0(VALU_DEP_4) | instskip(NEXT) | instid1(VALU_DEP_4)
	v_and_b32_e32 v53, v53, v55
	v_cmp_ne_u32_e64 s24, 0, v56
	s_delay_alu instid0(VALU_DEP_4) | instskip(SKIP_1) | instid1(VALU_DEP_3)
	v_xor_b32_e32 v55, s25, v32
	s_mov_b32 s25, exec_lo
	v_and_b32_e32 v53, v53, v54
	v_cndmask_b32_e64 v54, 0, 1, s7
	v_xor_b32_e32 v56, s24, v33
	s_delay_alu instid0(VALU_DEP_3) | instskip(NEXT) | instid1(VALU_DEP_3)
	v_and_b32_e32 v53, v53, v55
	v_cmp_ne_u32_e64 s24, 0, v54
	s_delay_alu instid0(VALU_DEP_2) | instskip(NEXT) | instid1(VALU_DEP_2)
	v_and_b32_e32 v53, v53, v56
	v_xor_b32_e32 v54, s24, v34
	s_delay_alu instid0(VALU_DEP_1) | instskip(NEXT) | instid1(VALU_DEP_1)
	v_and_b32_e32 v53, v53, v54
	v_mbcnt_lo_u32_b32 v54, v53, 0
	s_delay_alu instid0(VALU_DEP_1)
	v_cmpx_eq_u32_e32 0, v54
	s_cbranch_execz .LBB9_8
; %bb.7:                                ;   in Loop: Header=BB9_2 Depth=1
	v_bcnt_u32_b32 v53, v53, 0
	ds_add_u32 v4, v53
.LBB9_8:                                ;   in Loop: Header=BB9_2 Depth=1
	s_or_b32 exec_lo, exec_lo, s25
	v_cndmask_b32_e64 v53, 0, 1, s28
	v_cndmask_b32_e64 v54, 0, 1, s8
	;; [unrolled: 1-line block ×4, first 2 shown]
	s_delay_alu instid0(VALU_DEP_4) | instskip(SKIP_2) | instid1(VALU_DEP_3)
	v_cmp_ne_u32_e64 s24, 0, v53
	v_cndmask_b32_e64 v53, 0, 1, s9
	v_cmp_ne_u32_e64 s25, 0, v54
	v_xor_b32_e32 v54, s24, v7
	s_delay_alu instid0(VALU_DEP_3) | instskip(NEXT) | instid1(VALU_DEP_3)
	v_cmp_ne_u32_e64 s24, 0, v53
	v_xor_b32_e32 v53, s25, v35
	v_cmp_ne_u32_e64 s25, 0, v55
	s_delay_alu instid0(VALU_DEP_4) | instskip(NEXT) | instid1(VALU_DEP_4)
	v_and_b32_e32 v54, exec_lo, v54
	v_xor_b32_e32 v55, s24, v36
	v_cmp_ne_u32_e64 s24, 0, v56
	s_delay_alu instid0(VALU_DEP_4) | instskip(NEXT) | instid1(VALU_DEP_4)
	v_xor_b32_e32 v56, s25, v37
	v_and_b32_e32 v53, v54, v53
	v_cndmask_b32_e64 v54, 0, 1, s12
	s_delay_alu instid0(VALU_DEP_2) | instskip(SKIP_1) | instid1(VALU_DEP_3)
	v_and_b32_e32 v53, v53, v55
	v_cndmask_b32_e64 v55, 0, 1, s13
	v_cmp_ne_u32_e64 s25, 0, v54
	v_xor_b32_e32 v54, s24, v38
	s_delay_alu instid0(VALU_DEP_4) | instskip(SKIP_3) | instid1(VALU_DEP_4)
	v_and_b32_e32 v53, v53, v56
	v_cndmask_b32_e64 v56, 0, 1, s14
	v_cmp_ne_u32_e64 s24, 0, v55
	v_xor_b32_e32 v55, s25, v39
	v_and_b32_e32 v53, v53, v54
	s_delay_alu instid0(VALU_DEP_4) | instskip(NEXT) | instid1(VALU_DEP_4)
	v_cmp_ne_u32_e64 s25, 0, v56
	v_xor_b32_e32 v54, s24, v40
	s_delay_alu instid0(VALU_DEP_3) | instskip(SKIP_1) | instid1(VALU_DEP_4)
	v_and_b32_e32 v53, v53, v55
	v_cndmask_b32_e64 v55, 0, 1, s15
	v_xor_b32_e32 v56, s25, v41
	s_mov_b32 s25, exec_lo
	s_delay_alu instid0(VALU_DEP_3) | instskip(NEXT) | instid1(VALU_DEP_3)
	v_and_b32_e32 v53, v53, v54
	v_cmp_ne_u32_e64 s24, 0, v55
	s_delay_alu instid0(VALU_DEP_2) | instskip(NEXT) | instid1(VALU_DEP_2)
	v_and_b32_e32 v53, v53, v56
	v_xor_b32_e32 v54, s24, v42
	s_delay_alu instid0(VALU_DEP_1) | instskip(NEXT) | instid1(VALU_DEP_1)
	v_and_b32_e32 v53, v53, v54
	v_mbcnt_lo_u32_b32 v54, v53, 0
	s_delay_alu instid0(VALU_DEP_1)
	v_cmpx_eq_u32_e32 0, v54
	s_cbranch_execz .LBB9_10
; %bb.9:                                ;   in Loop: Header=BB9_2 Depth=1
	v_bcnt_u32_b32 v53, v53, 0
	ds_add_u32 v5, v53
.LBB9_10:                               ;   in Loop: Header=BB9_2 Depth=1
	s_or_b32 exec_lo, exec_lo, s25
	v_cndmask_b32_e64 v53, 0, 1, s29
	v_cndmask_b32_e64 v54, 0, 1, s16
	v_cndmask_b32_e64 v55, 0, 1, s18
	v_cndmask_b32_e64 v56, 0, 1, s19
	s_delay_alu instid0(VALU_DEP_4) | instskip(SKIP_2) | instid1(VALU_DEP_3)
	v_cmp_ne_u32_e64 s24, 0, v53
	v_cndmask_b32_e64 v53, 0, 1, s17
	v_cmp_ne_u32_e64 s25, 0, v54
	v_xor_b32_e32 v54, s24, v8
	s_delay_alu instid0(VALU_DEP_3) | instskip(NEXT) | instid1(VALU_DEP_3)
	v_cmp_ne_u32_e64 s24, 0, v53
	v_xor_b32_e32 v53, s25, v43
	v_cmp_ne_u32_e64 s25, 0, v55
	s_delay_alu instid0(VALU_DEP_4) | instskip(NEXT) | instid1(VALU_DEP_4)
	v_and_b32_e32 v54, exec_lo, v54
	v_xor_b32_e32 v55, s24, v44
	v_cmp_ne_u32_e64 s24, 0, v56
	s_delay_alu instid0(VALU_DEP_4) | instskip(NEXT) | instid1(VALU_DEP_4)
	v_xor_b32_e32 v56, s25, v45
	v_and_b32_e32 v53, v54, v53
	v_cndmask_b32_e64 v54, 0, 1, s20
	s_delay_alu instid0(VALU_DEP_2) | instskip(SKIP_1) | instid1(VALU_DEP_3)
	v_and_b32_e32 v53, v53, v55
	v_cndmask_b32_e64 v55, 0, 1, s21
	v_cmp_ne_u32_e64 s25, 0, v54
	v_xor_b32_e32 v54, s24, v46
	s_delay_alu instid0(VALU_DEP_4) | instskip(SKIP_3) | instid1(VALU_DEP_4)
	v_and_b32_e32 v53, v53, v56
	v_cndmask_b32_e64 v56, 0, 1, s22
	v_cmp_ne_u32_e64 s24, 0, v55
	v_xor_b32_e32 v55, s25, v47
	v_and_b32_e32 v53, v53, v54
	s_delay_alu instid0(VALU_DEP_4) | instskip(NEXT) | instid1(VALU_DEP_4)
	v_cmp_ne_u32_e64 s25, 0, v56
	v_xor_b32_e32 v54, s24, v48
	s_delay_alu instid0(VALU_DEP_3) | instskip(SKIP_1) | instid1(VALU_DEP_4)
	v_and_b32_e32 v53, v53, v55
	v_cndmask_b32_e64 v55, 0, 1, s23
	v_xor_b32_e32 v56, s25, v49
	s_mov_b32 s25, exec_lo
	s_delay_alu instid0(VALU_DEP_3) | instskip(NEXT) | instid1(VALU_DEP_3)
	v_and_b32_e32 v53, v53, v54
	v_cmp_ne_u32_e64 s24, 0, v55
	s_delay_alu instid0(VALU_DEP_2) | instskip(NEXT) | instid1(VALU_DEP_2)
	v_and_b32_e32 v53, v53, v56
	v_xor_b32_e32 v54, s24, v50
	s_delay_alu instid0(VALU_DEP_1) | instskip(NEXT) | instid1(VALU_DEP_1)
	v_and_b32_e32 v53, v53, v54
	v_mbcnt_lo_u32_b32 v54, v53, 0
	s_delay_alu instid0(VALU_DEP_1)
	v_cmpx_eq_u32_e32 0, v54
	s_cbranch_execz .LBB9_1
; %bb.11:                               ;   in Loop: Header=BB9_2 Depth=1
	v_bcnt_u32_b32 v53, v53, 0
	ds_add_u32 v6, v53
	s_branch .LBB9_1
.LBB9_12:
	s_and_saveexec_b32 s0, vcc_lo
	s_cbranch_execz .LBB9_14
; %bb.13:
	ds_load_b32 v3, v0
	v_mov_b32_e32 v2, 0
	s_delay_alu instid0(VALU_DEP_1) | instskip(NEXT) | instid1(VALU_DEP_1)
	v_lshlrev_b64 v[0:1], 2, v[1:2]
	v_add_co_u32 v0, vcc_lo, s26, v0
	s_delay_alu instid0(VALU_DEP_2)
	v_add_co_ci_u32_e32 v1, vcc_lo, s27, v1, vcc_lo
	s_waitcnt lgkmcnt(0)
	global_store_b32 v[0:1], v3, off
.LBB9_14:
	s_nop 0
	s_sendmsg sendmsg(MSG_DEALLOC_VGPRS)
	s_endpgm
	.section	.rodata,"a",@progbits
	.p2align	6, 0x0
	.amdhsa_kernel _Z6kernelI9histogramILN6hipcub23BlockHistogramAlgorithmE0EEiLj320ELj4ELj320ELj100EEvPKT0_PS4_
		.amdhsa_group_segment_fixed_size 1280
		.amdhsa_private_segment_fixed_size 0
		.amdhsa_kernarg_size 16
		.amdhsa_user_sgpr_count 15
		.amdhsa_user_sgpr_dispatch_ptr 0
		.amdhsa_user_sgpr_queue_ptr 0
		.amdhsa_user_sgpr_kernarg_segment_ptr 1
		.amdhsa_user_sgpr_dispatch_id 0
		.amdhsa_user_sgpr_private_segment_size 0
		.amdhsa_wavefront_size32 1
		.amdhsa_uses_dynamic_stack 0
		.amdhsa_enable_private_segment 0
		.amdhsa_system_sgpr_workgroup_id_x 1
		.amdhsa_system_sgpr_workgroup_id_y 0
		.amdhsa_system_sgpr_workgroup_id_z 0
		.amdhsa_system_sgpr_workgroup_info 0
		.amdhsa_system_vgpr_workitem_id 0
		.amdhsa_next_free_vgpr 76
		.amdhsa_next_free_sgpr 31
		.amdhsa_reserve_vcc 1
		.amdhsa_float_round_mode_32 0
		.amdhsa_float_round_mode_16_64 0
		.amdhsa_float_denorm_mode_32 3
		.amdhsa_float_denorm_mode_16_64 3
		.amdhsa_dx10_clamp 1
		.amdhsa_ieee_mode 1
		.amdhsa_fp16_overflow 0
		.amdhsa_workgroup_processor_mode 1
		.amdhsa_memory_ordered 1
		.amdhsa_forward_progress 0
		.amdhsa_shared_vgpr_count 0
		.amdhsa_exception_fp_ieee_invalid_op 0
		.amdhsa_exception_fp_denorm_src 0
		.amdhsa_exception_fp_ieee_div_zero 0
		.amdhsa_exception_fp_ieee_overflow 0
		.amdhsa_exception_fp_ieee_underflow 0
		.amdhsa_exception_fp_ieee_inexact 0
		.amdhsa_exception_int_div_zero 0
	.end_amdhsa_kernel
	.section	.text._Z6kernelI9histogramILN6hipcub23BlockHistogramAlgorithmE0EEiLj320ELj4ELj320ELj100EEvPKT0_PS4_,"axG",@progbits,_Z6kernelI9histogramILN6hipcub23BlockHistogramAlgorithmE0EEiLj320ELj4ELj320ELj100EEvPKT0_PS4_,comdat
.Lfunc_end9:
	.size	_Z6kernelI9histogramILN6hipcub23BlockHistogramAlgorithmE0EEiLj320ELj4ELj320ELj100EEvPKT0_PS4_, .Lfunc_end9-_Z6kernelI9histogramILN6hipcub23BlockHistogramAlgorithmE0EEiLj320ELj4ELj320ELj100EEvPKT0_PS4_
                                        ; -- End function
	.section	.AMDGPU.csdata,"",@progbits
; Kernel info:
; codeLenInByte = 2128
; NumSgprs: 33
; NumVgprs: 76
; ScratchSize: 0
; MemoryBound: 0
; FloatMode: 240
; IeeeMode: 1
; LDSByteSize: 1280 bytes/workgroup (compile time only)
; SGPRBlocks: 4
; VGPRBlocks: 9
; NumSGPRsForWavesPerEU: 33
; NumVGPRsForWavesPerEU: 76
; Occupancy: 15
; WaveLimiterHint : 0
; COMPUTE_PGM_RSRC2:SCRATCH_EN: 0
; COMPUTE_PGM_RSRC2:USER_SGPR: 15
; COMPUTE_PGM_RSRC2:TRAP_HANDLER: 0
; COMPUTE_PGM_RSRC2:TGID_X_EN: 1
; COMPUTE_PGM_RSRC2:TGID_Y_EN: 0
; COMPUTE_PGM_RSRC2:TGID_Z_EN: 0
; COMPUTE_PGM_RSRC2:TIDIG_COMP_CNT: 0
	.section	.text._Z6kernelI9histogramILN6hipcub23BlockHistogramAlgorithmE0EEiLj320ELj8ELj320ELj100EEvPKT0_PS4_,"axG",@progbits,_Z6kernelI9histogramILN6hipcub23BlockHistogramAlgorithmE0EEiLj320ELj8ELj320ELj100EEvPKT0_PS4_,comdat
	.protected	_Z6kernelI9histogramILN6hipcub23BlockHistogramAlgorithmE0EEiLj320ELj8ELj320ELj100EEvPKT0_PS4_ ; -- Begin function _Z6kernelI9histogramILN6hipcub23BlockHistogramAlgorithmE0EEiLj320ELj8ELj320ELj100EEvPKT0_PS4_
	.globl	_Z6kernelI9histogramILN6hipcub23BlockHistogramAlgorithmE0EEiLj320ELj8ELj320ELj100EEvPKT0_PS4_
	.p2align	8
	.type	_Z6kernelI9histogramILN6hipcub23BlockHistogramAlgorithmE0EEiLj320ELj8ELj320ELj100EEvPKT0_PS4_,@function
_Z6kernelI9histogramILN6hipcub23BlockHistogramAlgorithmE0EEiLj320ELj8ELj320ELj100EEvPKT0_PS4_: ; @_Z6kernelI9histogramILN6hipcub23BlockHistogramAlgorithmE0EEiLj320ELj8ELj320ELj100EEvPKT0_PS4_
; %bb.0:
	s_load_b128 s[68:71], s[0:1], 0x0
	v_mad_u64_u32 v[5:6], null, 0x140, s15, v[0:1]
	v_mov_b32_e32 v7, 0
	s_movk_i32 s77, 0x64
	s_delay_alu instid0(VALU_DEP_2) | instskip(NEXT) | instid1(VALU_DEP_1)
	v_lshlrev_b32_e32 v6, 3, v5
	v_lshlrev_b64 v[1:2], 2, v[6:7]
	s_waitcnt lgkmcnt(0)
	s_delay_alu instid0(VALU_DEP_1) | instskip(NEXT) | instid1(VALU_DEP_2)
	v_add_co_u32 v1, vcc_lo, s68, v1
	v_add_co_ci_u32_e32 v2, vcc_lo, s69, v2, vcc_lo
	v_cmp_gt_u32_e32 vcc_lo, 0x140, v0
	v_lshlrev_b32_e32 v0, 2, v0
	s_clause 0x1
	global_load_b128 v[8:11], v[1:2], off
	global_load_b128 v[1:4], v[1:2], off offset:16
	s_waitcnt vmcnt(1)
	v_lshlrev_b32_e32 v13, 30, v8
	v_lshlrev_b32_e32 v14, 29, v8
	;; [unrolled: 1-line block ×32, first 2 shown]
	s_waitcnt vmcnt(0)
	v_lshlrev_b32_e32 v49, 30, v1
	v_lshlrev_b32_e32 v50, 29, v1
	;; [unrolled: 1-line block ×24, first 2 shown]
	v_and_b32_e32 v75, 1, v4
	v_lshlrev_b32_e32 v76, 30, v4
	v_lshlrev_b32_e32 v77, 29, v4
	;; [unrolled: 1-line block ×8, first 2 shown]
	v_and_b32_e32 v12, 1, v8
	v_and_b32_e32 v21, 1, v9
	;; [unrolled: 1-line block ×7, first 2 shown]
	v_not_b32_e32 v84, v13
	v_not_b32_e32 v85, v14
	;; [unrolled: 1-line block ×5, first 2 shown]
	v_cmp_gt_i32_e64 s5, 0, v18
	v_not_b32_e32 v89, v18
	v_not_b32_e32 v90, v19
	;; [unrolled: 1-line block ×43, first 2 shown]
	v_cmp_gt_i32_e64 s49, 0, v67
	v_not_b32_e32 v67, v67
	v_cmp_gt_i32_e64 s50, 0, v68
	v_not_b32_e32 v68, v68
	;; [unrolled: 2-line block ×8, first 2 shown]
	v_add_co_u32 v18, s76, v75, -1
	v_cmp_gt_i32_e64 s57, 0, v76
	v_not_b32_e32 v75, v76
	v_cmp_gt_i32_e64 s58, 0, v77
	v_not_b32_e32 v76, v77
	;; [unrolled: 2-line block ×7, first 2 shown]
	v_not_b32_e32 v82, v83
	v_lshlrev_b32_e32 v6, 2, v8
	v_lshlrev_b32_e32 v8, 2, v9
	;; [unrolled: 1-line block ×7, first 2 shown]
	v_add_co_u32 v11, s67, v12, -1
	v_cmp_gt_i32_e64 s0, 0, v13
	v_cmp_gt_i32_e64 s1, 0, v14
	v_cmp_gt_i32_e64 s2, 0, v15
	v_cmp_gt_i32_e64 s3, 0, v16
	v_cmp_gt_i32_e64 s4, 0, v17
	v_cmp_gt_i32_e64 s6, 0, v19
	v_cmp_gt_i32_e64 s7, 0, v20
	v_add_co_u32 v12, s68, v21, -1
	v_cmp_gt_i32_e64 s8, 0, v22
	v_cmp_gt_i32_e64 s9, 0, v23
	v_cmp_gt_i32_e64 s10, 0, v24
	v_cmp_gt_i32_e64 s11, 0, v25
	v_cmp_gt_i32_e64 s12, 0, v26
	v_cmp_gt_i32_e64 s13, 0, v27
	v_cmp_gt_i32_e64 s14, 0, v28
	v_cmp_gt_i32_e64 s15, 0, v29
	v_add_co_u32 v13, s69, v30, -1
	v_cmp_gt_i32_e64 s16, 0, v31
	;; [unrolled: 9-line block ×6, first 2 shown]
	v_ashrrev_i32_e32 v19, 31, v84
	v_ashrrev_i32_e32 v20, 31, v85
	v_ashrrev_i32_e32 v21, 31, v86
	v_ashrrev_i32_e32 v22, 31, v87
	v_ashrrev_i32_e32 v23, 31, v88
	v_ashrrev_i32_e32 v24, 31, v89
	v_ashrrev_i32_e32 v25, 31, v90
	v_ashrrev_i32_e32 v26, 31, v91
	v_ashrrev_i32_e32 v27, 31, v92
	v_ashrrev_i32_e32 v28, 31, v93
	v_ashrrev_i32_e32 v29, 31, v94
	v_ashrrev_i32_e32 v30, 31, v95
	v_ashrrev_i32_e32 v31, 31, v96
	v_ashrrev_i32_e32 v32, 31, v97
	v_ashrrev_i32_e32 v33, 31, v98
	v_ashrrev_i32_e32 v34, 31, v99
	v_ashrrev_i32_e32 v35, 31, v100
	v_ashrrev_i32_e32 v36, 31, v101
	v_ashrrev_i32_e32 v37, 31, v102
	v_ashrrev_i32_e32 v38, 31, v103
	v_ashrrev_i32_e32 v39, 31, v104
	v_ashrrev_i32_e32 v40, 31, v105
	v_ashrrev_i32_e32 v41, 31, v106
	v_ashrrev_i32_e32 v42, 31, v107
	v_ashrrev_i32_e32 v43, 31, v108
	v_ashrrev_i32_e32 v44, 31, v109
	v_ashrrev_i32_e32 v45, 31, v110
	v_ashrrev_i32_e32 v46, 31, v111
	v_ashrrev_i32_e32 v47, 31, v112
	v_ashrrev_i32_e32 v48, 31, v113
	v_ashrrev_i32_e32 v49, 31, v114
	v_ashrrev_i32_e32 v50, 31, v115
	v_ashrrev_i32_e32 v51, 31, v116
	v_ashrrev_i32_e32 v52, 31, v117
	v_ashrrev_i32_e32 v53, 31, v118
	v_ashrrev_i32_e32 v54, 31, v119
	v_ashrrev_i32_e32 v55, 31, v120
	v_ashrrev_i32_e32 v56, 31, v121
	v_ashrrev_i32_e32 v57, 31, v122
	v_ashrrev_i32_e32 v58, 31, v123
	v_ashrrev_i32_e32 v59, 31, v124
	v_ashrrev_i32_e32 v60, 31, v125
	v_ashrrev_i32_e32 v61, 31, v126
	v_ashrrev_i32_e32 v62, 31, v127
	v_ashrrev_i32_e32 v63, 31, v128
	v_ashrrev_i32_e32 v64, 31, v129
	v_ashrrev_i32_e32 v65, 31, v130
	v_ashrrev_i32_e32 v66, 31, v131
	v_ashrrev_i32_e32 v67, 31, v67
	v_ashrrev_i32_e32 v68, 31, v68
	v_ashrrev_i32_e32 v69, 31, v69
	v_ashrrev_i32_e32 v70, 31, v70
	v_ashrrev_i32_e32 v71, 31, v71
	v_ashrrev_i32_e32 v72, 31, v72
	v_ashrrev_i32_e32 v73, 31, v73
	v_ashrrev_i32_e32 v74, 31, v74
	v_ashrrev_i32_e32 v75, 31, v75
	v_ashrrev_i32_e32 v76, 31, v76
	v_ashrrev_i32_e32 v77, 31, v77
	v_ashrrev_i32_e32 v78, 31, v78
	v_ashrrev_i32_e32 v79, 31, v79
	v_ashrrev_i32_e32 v80, 31, v80
	v_ashrrev_i32_e32 v81, 31, v81
	v_ashrrev_i32_e32 v82, 31, v82
	v_lshlrev_b32_e32 v4, 2, v4
	s_branch .LBB10_2
.LBB10_1:                               ;   in Loop: Header=BB10_2 Depth=1
	s_or_b32 exec_lo, exec_lo, s66
	s_add_i32 s77, s77, -1
	s_waitcnt lgkmcnt(0)
	s_cmp_lg_u32 s77, 0
	s_barrier
	buffer_gl0_inv
	s_cbranch_scc0 .LBB10_20
.LBB10_2:                               ; =>This Inner Loop Header: Depth=1
	s_and_saveexec_b32 s65, vcc_lo
	s_cbranch_execz .LBB10_4
; %bb.3:                                ;   in Loop: Header=BB10_2 Depth=1
	ds_store_b32 v0, v7
.LBB10_4:                               ;   in Loop: Header=BB10_2 Depth=1
	s_or_b32 exec_lo, exec_lo, s65
	v_cndmask_b32_e64 v83, 0, 1, s67
	v_cndmask_b32_e64 v84, 0, 1, s0
	;; [unrolled: 1-line block ×4, first 2 shown]
	s_waitcnt lgkmcnt(0)
	v_cmp_ne_u32_e64 s65, 0, v83
	v_cndmask_b32_e64 v83, 0, 1, s1
	v_cmp_ne_u32_e64 s66, 0, v84
	s_barrier
	buffer_gl0_inv
	v_xor_b32_e32 v84, s65, v11
	v_cmp_ne_u32_e64 s65, 0, v83
	v_xor_b32_e32 v83, s66, v19
	v_cmp_ne_u32_e64 s66, 0, v85
	s_delay_alu instid0(VALU_DEP_4) | instskip(NEXT) | instid1(VALU_DEP_4)
	v_and_b32_e32 v84, exec_lo, v84
	v_xor_b32_e32 v85, s65, v20
	v_cmp_ne_u32_e64 s65, 0, v86
	s_delay_alu instid0(VALU_DEP_4) | instskip(NEXT) | instid1(VALU_DEP_4)
	v_xor_b32_e32 v86, s66, v21
	v_and_b32_e32 v83, v84, v83
	v_cndmask_b32_e64 v84, 0, 1, s4
	s_delay_alu instid0(VALU_DEP_2) | instskip(SKIP_1) | instid1(VALU_DEP_3)
	v_and_b32_e32 v83, v83, v85
	v_cndmask_b32_e64 v85, 0, 1, s5
	v_cmp_ne_u32_e64 s66, 0, v84
	v_xor_b32_e32 v84, s65, v22
	s_delay_alu instid0(VALU_DEP_4) | instskip(SKIP_3) | instid1(VALU_DEP_4)
	v_and_b32_e32 v83, v83, v86
	v_cndmask_b32_e64 v86, 0, 1, s6
	v_cmp_ne_u32_e64 s65, 0, v85
	v_xor_b32_e32 v85, s66, v23
	v_and_b32_e32 v83, v83, v84
	s_delay_alu instid0(VALU_DEP_4) | instskip(NEXT) | instid1(VALU_DEP_4)
	v_cmp_ne_u32_e64 s66, 0, v86
	v_xor_b32_e32 v84, s65, v24
	s_delay_alu instid0(VALU_DEP_3) | instskip(SKIP_1) | instid1(VALU_DEP_4)
	v_and_b32_e32 v83, v83, v85
	v_cndmask_b32_e64 v85, 0, 1, s7
	v_xor_b32_e32 v86, s66, v25
	s_mov_b32 s66, exec_lo
	s_delay_alu instid0(VALU_DEP_3) | instskip(NEXT) | instid1(VALU_DEP_3)
	v_and_b32_e32 v83, v83, v84
	v_cmp_ne_u32_e64 s65, 0, v85
	s_delay_alu instid0(VALU_DEP_2) | instskip(NEXT) | instid1(VALU_DEP_2)
	v_and_b32_e32 v83, v83, v86
	v_xor_b32_e32 v84, s65, v26
	s_delay_alu instid0(VALU_DEP_1) | instskip(NEXT) | instid1(VALU_DEP_1)
	v_and_b32_e32 v83, v83, v84
	v_mbcnt_lo_u32_b32 v84, v83, 0
	s_delay_alu instid0(VALU_DEP_1)
	v_cmpx_eq_u32_e32 0, v84
	s_cbranch_execz .LBB10_6
; %bb.5:                                ;   in Loop: Header=BB10_2 Depth=1
	v_bcnt_u32_b32 v83, v83, 0
	ds_add_u32 v6, v83
.LBB10_6:                               ;   in Loop: Header=BB10_2 Depth=1
	s_or_b32 exec_lo, exec_lo, s66
	v_cndmask_b32_e64 v83, 0, 1, s68
	v_cndmask_b32_e64 v84, 0, 1, s8
	;; [unrolled: 1-line block ×4, first 2 shown]
	s_delay_alu instid0(VALU_DEP_4) | instskip(SKIP_2) | instid1(VALU_DEP_3)
	v_cmp_ne_u32_e64 s65, 0, v83
	v_cndmask_b32_e64 v83, 0, 1, s9
	v_cmp_ne_u32_e64 s66, 0, v84
	v_xor_b32_e32 v84, s65, v12
	s_delay_alu instid0(VALU_DEP_3) | instskip(NEXT) | instid1(VALU_DEP_3)
	v_cmp_ne_u32_e64 s65, 0, v83
	v_xor_b32_e32 v83, s66, v27
	v_cmp_ne_u32_e64 s66, 0, v85
	s_delay_alu instid0(VALU_DEP_4) | instskip(NEXT) | instid1(VALU_DEP_4)
	v_and_b32_e32 v84, exec_lo, v84
	v_xor_b32_e32 v85, s65, v28
	v_cmp_ne_u32_e64 s65, 0, v86
	s_delay_alu instid0(VALU_DEP_4) | instskip(NEXT) | instid1(VALU_DEP_4)
	v_xor_b32_e32 v86, s66, v29
	v_and_b32_e32 v83, v84, v83
	v_cndmask_b32_e64 v84, 0, 1, s12
	s_delay_alu instid0(VALU_DEP_2) | instskip(SKIP_1) | instid1(VALU_DEP_3)
	v_and_b32_e32 v83, v83, v85
	v_cndmask_b32_e64 v85, 0, 1, s13
	v_cmp_ne_u32_e64 s66, 0, v84
	v_xor_b32_e32 v84, s65, v30
	s_delay_alu instid0(VALU_DEP_4) | instskip(SKIP_3) | instid1(VALU_DEP_4)
	v_and_b32_e32 v83, v83, v86
	v_cndmask_b32_e64 v86, 0, 1, s14
	v_cmp_ne_u32_e64 s65, 0, v85
	v_xor_b32_e32 v85, s66, v31
	v_and_b32_e32 v83, v83, v84
	s_delay_alu instid0(VALU_DEP_4) | instskip(NEXT) | instid1(VALU_DEP_4)
	v_cmp_ne_u32_e64 s66, 0, v86
	v_xor_b32_e32 v84, s65, v32
	s_delay_alu instid0(VALU_DEP_3) | instskip(SKIP_1) | instid1(VALU_DEP_4)
	v_and_b32_e32 v83, v83, v85
	v_cndmask_b32_e64 v85, 0, 1, s15
	v_xor_b32_e32 v86, s66, v33
	s_mov_b32 s66, exec_lo
	s_delay_alu instid0(VALU_DEP_3) | instskip(NEXT) | instid1(VALU_DEP_3)
	v_and_b32_e32 v83, v83, v84
	v_cmp_ne_u32_e64 s65, 0, v85
	s_delay_alu instid0(VALU_DEP_2) | instskip(NEXT) | instid1(VALU_DEP_2)
	v_and_b32_e32 v83, v83, v86
	v_xor_b32_e32 v84, s65, v34
	s_delay_alu instid0(VALU_DEP_1) | instskip(NEXT) | instid1(VALU_DEP_1)
	v_and_b32_e32 v83, v83, v84
	v_mbcnt_lo_u32_b32 v84, v83, 0
	s_delay_alu instid0(VALU_DEP_1)
	v_cmpx_eq_u32_e32 0, v84
	s_cbranch_execz .LBB10_8
; %bb.7:                                ;   in Loop: Header=BB10_2 Depth=1
	v_bcnt_u32_b32 v83, v83, 0
	ds_add_u32 v8, v83
.LBB10_8:                               ;   in Loop: Header=BB10_2 Depth=1
	s_or_b32 exec_lo, exec_lo, s66
	v_cndmask_b32_e64 v83, 0, 1, s69
	v_cndmask_b32_e64 v84, 0, 1, s16
	;; [unrolled: 1-line block ×4, first 2 shown]
	s_delay_alu instid0(VALU_DEP_4) | instskip(SKIP_2) | instid1(VALU_DEP_3)
	v_cmp_ne_u32_e64 s65, 0, v83
	v_cndmask_b32_e64 v83, 0, 1, s17
	v_cmp_ne_u32_e64 s66, 0, v84
	v_xor_b32_e32 v84, s65, v13
	s_delay_alu instid0(VALU_DEP_3) | instskip(NEXT) | instid1(VALU_DEP_3)
	v_cmp_ne_u32_e64 s65, 0, v83
	v_xor_b32_e32 v83, s66, v35
	v_cmp_ne_u32_e64 s66, 0, v85
	s_delay_alu instid0(VALU_DEP_4) | instskip(NEXT) | instid1(VALU_DEP_4)
	v_and_b32_e32 v84, exec_lo, v84
	v_xor_b32_e32 v85, s65, v36
	v_cmp_ne_u32_e64 s65, 0, v86
	s_delay_alu instid0(VALU_DEP_4) | instskip(NEXT) | instid1(VALU_DEP_4)
	v_xor_b32_e32 v86, s66, v37
	v_and_b32_e32 v83, v84, v83
	v_cndmask_b32_e64 v84, 0, 1, s20
	s_delay_alu instid0(VALU_DEP_2) | instskip(SKIP_1) | instid1(VALU_DEP_3)
	v_and_b32_e32 v83, v83, v85
	v_cndmask_b32_e64 v85, 0, 1, s21
	v_cmp_ne_u32_e64 s66, 0, v84
	v_xor_b32_e32 v84, s65, v38
	s_delay_alu instid0(VALU_DEP_4) | instskip(SKIP_3) | instid1(VALU_DEP_4)
	v_and_b32_e32 v83, v83, v86
	v_cndmask_b32_e64 v86, 0, 1, s22
	v_cmp_ne_u32_e64 s65, 0, v85
	v_xor_b32_e32 v85, s66, v39
	v_and_b32_e32 v83, v83, v84
	s_delay_alu instid0(VALU_DEP_4) | instskip(NEXT) | instid1(VALU_DEP_4)
	v_cmp_ne_u32_e64 s66, 0, v86
	v_xor_b32_e32 v84, s65, v40
	s_delay_alu instid0(VALU_DEP_3) | instskip(SKIP_1) | instid1(VALU_DEP_4)
	v_and_b32_e32 v83, v83, v85
	v_cndmask_b32_e64 v85, 0, 1, s23
	v_xor_b32_e32 v86, s66, v41
	s_mov_b32 s66, exec_lo
	s_delay_alu instid0(VALU_DEP_3) | instskip(NEXT) | instid1(VALU_DEP_3)
	v_and_b32_e32 v83, v83, v84
	v_cmp_ne_u32_e64 s65, 0, v85
	s_delay_alu instid0(VALU_DEP_2) | instskip(NEXT) | instid1(VALU_DEP_2)
	v_and_b32_e32 v83, v83, v86
	v_xor_b32_e32 v84, s65, v42
	s_delay_alu instid0(VALU_DEP_1) | instskip(NEXT) | instid1(VALU_DEP_1)
	v_and_b32_e32 v83, v83, v84
	v_mbcnt_lo_u32_b32 v84, v83, 0
	s_delay_alu instid0(VALU_DEP_1)
	v_cmpx_eq_u32_e32 0, v84
	s_cbranch_execz .LBB10_10
; %bb.9:                                ;   in Loop: Header=BB10_2 Depth=1
	v_bcnt_u32_b32 v83, v83, 0
	ds_add_u32 v9, v83
.LBB10_10:                              ;   in Loop: Header=BB10_2 Depth=1
	s_or_b32 exec_lo, exec_lo, s66
	v_cndmask_b32_e64 v83, 0, 1, s72
	v_cndmask_b32_e64 v84, 0, 1, s24
	v_cndmask_b32_e64 v85, 0, 1, s26
	v_cndmask_b32_e64 v86, 0, 1, s27
	s_delay_alu instid0(VALU_DEP_4) | instskip(SKIP_2) | instid1(VALU_DEP_3)
	v_cmp_ne_u32_e64 s65, 0, v83
	v_cndmask_b32_e64 v83, 0, 1, s25
	v_cmp_ne_u32_e64 s66, 0, v84
	v_xor_b32_e32 v84, s65, v14
	s_delay_alu instid0(VALU_DEP_3) | instskip(NEXT) | instid1(VALU_DEP_3)
	v_cmp_ne_u32_e64 s65, 0, v83
	v_xor_b32_e32 v83, s66, v43
	v_cmp_ne_u32_e64 s66, 0, v85
	s_delay_alu instid0(VALU_DEP_4) | instskip(NEXT) | instid1(VALU_DEP_4)
	v_and_b32_e32 v84, exec_lo, v84
	v_xor_b32_e32 v85, s65, v44
	v_cmp_ne_u32_e64 s65, 0, v86
	s_delay_alu instid0(VALU_DEP_4) | instskip(NEXT) | instid1(VALU_DEP_4)
	v_xor_b32_e32 v86, s66, v45
	v_and_b32_e32 v83, v84, v83
	v_cndmask_b32_e64 v84, 0, 1, s28
	s_delay_alu instid0(VALU_DEP_2) | instskip(SKIP_1) | instid1(VALU_DEP_3)
	v_and_b32_e32 v83, v83, v85
	v_cndmask_b32_e64 v85, 0, 1, s29
	v_cmp_ne_u32_e64 s66, 0, v84
	v_xor_b32_e32 v84, s65, v46
	s_delay_alu instid0(VALU_DEP_4) | instskip(SKIP_3) | instid1(VALU_DEP_4)
	v_and_b32_e32 v83, v83, v86
	v_cndmask_b32_e64 v86, 0, 1, s30
	v_cmp_ne_u32_e64 s65, 0, v85
	v_xor_b32_e32 v85, s66, v47
	v_and_b32_e32 v83, v83, v84
	s_delay_alu instid0(VALU_DEP_4) | instskip(NEXT) | instid1(VALU_DEP_4)
	v_cmp_ne_u32_e64 s66, 0, v86
	v_xor_b32_e32 v84, s65, v48
	s_delay_alu instid0(VALU_DEP_3) | instskip(SKIP_1) | instid1(VALU_DEP_4)
	v_and_b32_e32 v83, v83, v85
	v_cndmask_b32_e64 v85, 0, 1, s31
	v_xor_b32_e32 v86, s66, v49
	s_mov_b32 s66, exec_lo
	s_delay_alu instid0(VALU_DEP_3) | instskip(NEXT) | instid1(VALU_DEP_3)
	v_and_b32_e32 v83, v83, v84
	v_cmp_ne_u32_e64 s65, 0, v85
	s_delay_alu instid0(VALU_DEP_2) | instskip(NEXT) | instid1(VALU_DEP_2)
	v_and_b32_e32 v83, v83, v86
	v_xor_b32_e32 v84, s65, v50
	s_delay_alu instid0(VALU_DEP_1) | instskip(NEXT) | instid1(VALU_DEP_1)
	v_and_b32_e32 v83, v83, v84
	v_mbcnt_lo_u32_b32 v84, v83, 0
	s_delay_alu instid0(VALU_DEP_1)
	v_cmpx_eq_u32_e32 0, v84
	s_cbranch_execz .LBB10_12
; %bb.11:                               ;   in Loop: Header=BB10_2 Depth=1
	v_bcnt_u32_b32 v83, v83, 0
	ds_add_u32 v10, v83
.LBB10_12:                              ;   in Loop: Header=BB10_2 Depth=1
	s_or_b32 exec_lo, exec_lo, s66
	v_cndmask_b32_e64 v83, 0, 1, s73
	v_cndmask_b32_e64 v84, 0, 1, s33
	v_cndmask_b32_e64 v85, 0, 1, s35
	v_cndmask_b32_e64 v86, 0, 1, s36
	s_delay_alu instid0(VALU_DEP_4) | instskip(SKIP_2) | instid1(VALU_DEP_3)
	v_cmp_ne_u32_e64 s65, 0, v83
	v_cndmask_b32_e64 v83, 0, 1, s34
	v_cmp_ne_u32_e64 s66, 0, v84
	v_xor_b32_e32 v84, s65, v15
	s_delay_alu instid0(VALU_DEP_3) | instskip(NEXT) | instid1(VALU_DEP_3)
	v_cmp_ne_u32_e64 s65, 0, v83
	v_xor_b32_e32 v83, s66, v51
	v_cmp_ne_u32_e64 s66, 0, v85
	s_delay_alu instid0(VALU_DEP_4) | instskip(NEXT) | instid1(VALU_DEP_4)
	v_and_b32_e32 v84, exec_lo, v84
	v_xor_b32_e32 v85, s65, v52
	v_cmp_ne_u32_e64 s65, 0, v86
	s_delay_alu instid0(VALU_DEP_4) | instskip(NEXT) | instid1(VALU_DEP_4)
	v_xor_b32_e32 v86, s66, v53
	v_and_b32_e32 v83, v84, v83
	v_cndmask_b32_e64 v84, 0, 1, s37
	s_delay_alu instid0(VALU_DEP_2) | instskip(SKIP_1) | instid1(VALU_DEP_3)
	v_and_b32_e32 v83, v83, v85
	v_cndmask_b32_e64 v85, 0, 1, s38
	v_cmp_ne_u32_e64 s66, 0, v84
	v_xor_b32_e32 v84, s65, v54
	s_delay_alu instid0(VALU_DEP_4) | instskip(SKIP_3) | instid1(VALU_DEP_4)
	v_and_b32_e32 v83, v83, v86
	v_cndmask_b32_e64 v86, 0, 1, s39
	v_cmp_ne_u32_e64 s65, 0, v85
	v_xor_b32_e32 v85, s66, v55
	v_and_b32_e32 v83, v83, v84
	s_delay_alu instid0(VALU_DEP_4) | instskip(NEXT) | instid1(VALU_DEP_4)
	v_cmp_ne_u32_e64 s66, 0, v86
	v_xor_b32_e32 v84, s65, v56
	s_delay_alu instid0(VALU_DEP_3) | instskip(SKIP_1) | instid1(VALU_DEP_4)
	v_and_b32_e32 v83, v83, v85
	v_cndmask_b32_e64 v85, 0, 1, s40
	v_xor_b32_e32 v86, s66, v57
	s_mov_b32 s66, exec_lo
	s_delay_alu instid0(VALU_DEP_3) | instskip(NEXT) | instid1(VALU_DEP_3)
	v_and_b32_e32 v83, v83, v84
	v_cmp_ne_u32_e64 s65, 0, v85
	s_delay_alu instid0(VALU_DEP_2) | instskip(NEXT) | instid1(VALU_DEP_2)
	v_and_b32_e32 v83, v83, v86
	v_xor_b32_e32 v84, s65, v58
	s_delay_alu instid0(VALU_DEP_1) | instskip(NEXT) | instid1(VALU_DEP_1)
	v_and_b32_e32 v83, v83, v84
	v_mbcnt_lo_u32_b32 v84, v83, 0
	s_delay_alu instid0(VALU_DEP_1)
	v_cmpx_eq_u32_e32 0, v84
	s_cbranch_execz .LBB10_14
; %bb.13:                               ;   in Loop: Header=BB10_2 Depth=1
	v_bcnt_u32_b32 v83, v83, 0
	ds_add_u32 v1, v83
.LBB10_14:                              ;   in Loop: Header=BB10_2 Depth=1
	;; [unrolled: 57-line block ×4, first 2 shown]
	s_or_b32 exec_lo, exec_lo, s66
	v_cndmask_b32_e64 v83, 0, 1, s76
	v_cndmask_b32_e64 v84, 0, 1, s57
	;; [unrolled: 1-line block ×4, first 2 shown]
	s_delay_alu instid0(VALU_DEP_4) | instskip(SKIP_2) | instid1(VALU_DEP_3)
	v_cmp_ne_u32_e64 s65, 0, v83
	v_cndmask_b32_e64 v83, 0, 1, s58
	v_cmp_ne_u32_e64 s66, 0, v84
	v_xor_b32_e32 v84, s65, v18
	s_delay_alu instid0(VALU_DEP_3) | instskip(NEXT) | instid1(VALU_DEP_3)
	v_cmp_ne_u32_e64 s65, 0, v83
	v_xor_b32_e32 v83, s66, v75
	v_cmp_ne_u32_e64 s66, 0, v85
	s_delay_alu instid0(VALU_DEP_4) | instskip(NEXT) | instid1(VALU_DEP_4)
	v_and_b32_e32 v84, exec_lo, v84
	v_xor_b32_e32 v85, s65, v76
	v_cmp_ne_u32_e64 s65, 0, v86
	s_delay_alu instid0(VALU_DEP_4) | instskip(NEXT) | instid1(VALU_DEP_4)
	v_xor_b32_e32 v86, s66, v77
	v_and_b32_e32 v83, v84, v83
	v_cndmask_b32_e64 v84, 0, 1, s61
	s_delay_alu instid0(VALU_DEP_2) | instskip(SKIP_1) | instid1(VALU_DEP_3)
	v_and_b32_e32 v83, v83, v85
	v_cndmask_b32_e64 v85, 0, 1, s62
	v_cmp_ne_u32_e64 s66, 0, v84
	v_xor_b32_e32 v84, s65, v78
	s_delay_alu instid0(VALU_DEP_4) | instskip(SKIP_3) | instid1(VALU_DEP_4)
	v_and_b32_e32 v83, v83, v86
	v_cndmask_b32_e64 v86, 0, 1, s63
	v_cmp_ne_u32_e64 s65, 0, v85
	v_xor_b32_e32 v85, s66, v79
	v_and_b32_e32 v83, v83, v84
	s_delay_alu instid0(VALU_DEP_4) | instskip(NEXT) | instid1(VALU_DEP_4)
	v_cmp_ne_u32_e64 s66, 0, v86
	v_xor_b32_e32 v84, s65, v80
	s_delay_alu instid0(VALU_DEP_3) | instskip(SKIP_1) | instid1(VALU_DEP_4)
	v_and_b32_e32 v83, v83, v85
	v_cndmask_b32_e64 v85, 0, 1, s64
	v_xor_b32_e32 v86, s66, v81
	s_mov_b32 s66, exec_lo
	s_delay_alu instid0(VALU_DEP_3) | instskip(NEXT) | instid1(VALU_DEP_3)
	v_and_b32_e32 v83, v83, v84
	v_cmp_ne_u32_e64 s65, 0, v85
	s_delay_alu instid0(VALU_DEP_2) | instskip(NEXT) | instid1(VALU_DEP_2)
	v_and_b32_e32 v83, v83, v86
	v_xor_b32_e32 v84, s65, v82
	s_delay_alu instid0(VALU_DEP_1) | instskip(NEXT) | instid1(VALU_DEP_1)
	v_and_b32_e32 v83, v83, v84
	v_mbcnt_lo_u32_b32 v84, v83, 0
	s_delay_alu instid0(VALU_DEP_1)
	v_cmpx_eq_u32_e32 0, v84
	s_cbranch_execz .LBB10_1
; %bb.19:                               ;   in Loop: Header=BB10_2 Depth=1
	v_bcnt_u32_b32 v83, v83, 0
	ds_add_u32 v4, v83
	s_branch .LBB10_1
.LBB10_20:
	s_and_saveexec_b32 s0, vcc_lo
	s_cbranch_execz .LBB10_22
; %bb.21:
	ds_load_b32 v2, v0
	v_mov_b32_e32 v6, 0
	s_delay_alu instid0(VALU_DEP_1) | instskip(NEXT) | instid1(VALU_DEP_1)
	v_lshlrev_b64 v[0:1], 2, v[5:6]
	v_add_co_u32 v0, vcc_lo, s70, v0
	s_delay_alu instid0(VALU_DEP_2)
	v_add_co_ci_u32_e32 v1, vcc_lo, s71, v1, vcc_lo
	s_waitcnt lgkmcnt(0)
	global_store_b32 v[0:1], v2, off
.LBB10_22:
	s_nop 0
	s_sendmsg sendmsg(MSG_DEALLOC_VGPRS)
	s_endpgm
	.section	.rodata,"a",@progbits
	.p2align	6, 0x0
	.amdhsa_kernel _Z6kernelI9histogramILN6hipcub23BlockHistogramAlgorithmE0EEiLj320ELj8ELj320ELj100EEvPKT0_PS4_
		.amdhsa_group_segment_fixed_size 1280
		.amdhsa_private_segment_fixed_size 0
		.amdhsa_kernarg_size 16
		.amdhsa_user_sgpr_count 15
		.amdhsa_user_sgpr_dispatch_ptr 0
		.amdhsa_user_sgpr_queue_ptr 0
		.amdhsa_user_sgpr_kernarg_segment_ptr 1
		.amdhsa_user_sgpr_dispatch_id 0
		.amdhsa_user_sgpr_private_segment_size 0
		.amdhsa_wavefront_size32 1
		.amdhsa_uses_dynamic_stack 0
		.amdhsa_enable_private_segment 0
		.amdhsa_system_sgpr_workgroup_id_x 1
		.amdhsa_system_sgpr_workgroup_id_y 0
		.amdhsa_system_sgpr_workgroup_id_z 0
		.amdhsa_system_sgpr_workgroup_info 0
		.amdhsa_system_vgpr_workitem_id 0
		.amdhsa_next_free_vgpr 132
		.amdhsa_next_free_sgpr 78
		.amdhsa_reserve_vcc 1
		.amdhsa_float_round_mode_32 0
		.amdhsa_float_round_mode_16_64 0
		.amdhsa_float_denorm_mode_32 3
		.amdhsa_float_denorm_mode_16_64 3
		.amdhsa_dx10_clamp 1
		.amdhsa_ieee_mode 1
		.amdhsa_fp16_overflow 0
		.amdhsa_workgroup_processor_mode 1
		.amdhsa_memory_ordered 1
		.amdhsa_forward_progress 0
		.amdhsa_shared_vgpr_count 0
		.amdhsa_exception_fp_ieee_invalid_op 0
		.amdhsa_exception_fp_denorm_src 0
		.amdhsa_exception_fp_ieee_div_zero 0
		.amdhsa_exception_fp_ieee_overflow 0
		.amdhsa_exception_fp_ieee_underflow 0
		.amdhsa_exception_fp_ieee_inexact 0
		.amdhsa_exception_int_div_zero 0
	.end_amdhsa_kernel
	.section	.text._Z6kernelI9histogramILN6hipcub23BlockHistogramAlgorithmE0EEiLj320ELj8ELj320ELj100EEvPKT0_PS4_,"axG",@progbits,_Z6kernelI9histogramILN6hipcub23BlockHistogramAlgorithmE0EEiLj320ELj8ELj320ELj100EEvPKT0_PS4_,comdat
.Lfunc_end10:
	.size	_Z6kernelI9histogramILN6hipcub23BlockHistogramAlgorithmE0EEiLj320ELj8ELj320ELj100EEvPKT0_PS4_, .Lfunc_end10-_Z6kernelI9histogramILN6hipcub23BlockHistogramAlgorithmE0EEiLj320ELj8ELj320ELj100EEvPKT0_PS4_
                                        ; -- End function
	.section	.AMDGPU.csdata,"",@progbits
; Kernel info:
; codeLenInByte = 4080
; NumSgprs: 80
; NumVgprs: 132
; ScratchSize: 0
; MemoryBound: 0
; FloatMode: 240
; IeeeMode: 1
; LDSByteSize: 1280 bytes/workgroup (compile time only)
; SGPRBlocks: 9
; VGPRBlocks: 16
; NumSGPRsForWavesPerEU: 80
; NumVGPRsForWavesPerEU: 132
; Occupancy: 10
; WaveLimiterHint : 0
; COMPUTE_PGM_RSRC2:SCRATCH_EN: 0
; COMPUTE_PGM_RSRC2:USER_SGPR: 15
; COMPUTE_PGM_RSRC2:TRAP_HANDLER: 0
; COMPUTE_PGM_RSRC2:TGID_X_EN: 1
; COMPUTE_PGM_RSRC2:TGID_Y_EN: 0
; COMPUTE_PGM_RSRC2:TGID_Z_EN: 0
; COMPUTE_PGM_RSRC2:TIDIG_COMP_CNT: 0
	.section	.text._Z6kernelI9histogramILN6hipcub23BlockHistogramAlgorithmE0EEiLj320ELj16ELj320ELj100EEvPKT0_PS4_,"axG",@progbits,_Z6kernelI9histogramILN6hipcub23BlockHistogramAlgorithmE0EEiLj320ELj16ELj320ELj100EEvPKT0_PS4_,comdat
	.protected	_Z6kernelI9histogramILN6hipcub23BlockHistogramAlgorithmE0EEiLj320ELj16ELj320ELj100EEvPKT0_PS4_ ; -- Begin function _Z6kernelI9histogramILN6hipcub23BlockHistogramAlgorithmE0EEiLj320ELj16ELj320ELj100EEvPKT0_PS4_
	.globl	_Z6kernelI9histogramILN6hipcub23BlockHistogramAlgorithmE0EEiLj320ELj16ELj320ELj100EEvPKT0_PS4_
	.p2align	8
	.type	_Z6kernelI9histogramILN6hipcub23BlockHistogramAlgorithmE0EEiLj320ELj16ELj320ELj100EEvPKT0_PS4_,@function
_Z6kernelI9histogramILN6hipcub23BlockHistogramAlgorithmE0EEiLj320ELj16ELj320ELj100EEvPKT0_PS4_: ; @_Z6kernelI9histogramILN6hipcub23BlockHistogramAlgorithmE0EEiLj320ELj16ELj320ELj100EEvPKT0_PS4_
; %bb.0:
	s_load_b128 s[0:3], s[0:1], 0x0
	v_mad_u64_u32 v[13:14], null, 0x140, s15, v[0:1]
                                        ; implicit-def: $vgpr168 : SGPR spill to VGPR lane
                                        ; implicit-def: $vgpr167 : SGPR spill to VGPR lane
	s_movk_i32 s36, 0x64
	s_delay_alu instid0(VALU_DEP_1) | instskip(NEXT) | instid1(VALU_DEP_1)
	v_dual_mov_b32 v15, 0 :: v_dual_lshlrev_b32 v14, 4, v13
	v_lshlrev_b64 v[1:2], 2, v[14:15]
	s_waitcnt lgkmcnt(0)
	s_delay_alu instid0(VALU_DEP_1) | instskip(SKIP_1) | instid1(VALU_DEP_3)
	v_add_co_u32 v16, vcc_lo, s0, v1
	v_writelane_b32 v168, s0, 0
	v_add_co_ci_u32_e32 v17, vcc_lo, s1, v2, vcc_lo
	s_clause 0x3
	global_load_b128 v[1:4], v[16:17], off offset:48
	global_load_b128 v[5:8], v[16:17], off offset:32
	;; [unrolled: 1-line block ×3, first 2 shown]
	global_load_b128 v[51:54], v[16:17], off
	v_writelane_b32 v168, s1, 1
	v_writelane_b32 v168, s2, 2
	;; [unrolled: 1-line block ×3, first 2 shown]
	v_cmp_gt_u32_e64 s0, 0x140, v0
	v_lshlrev_b32_e32 v0, 2, v0
	s_delay_alu instid0(VALU_DEP_2)
	v_writelane_b32 v168, s0, 4
	s_waitcnt vmcnt(3)
	v_lshlrev_b32_e32 v128, 30, v1
	s_waitcnt vmcnt(2)
	v_lshlrev_b32_e32 v92, 30, v5
	s_waitcnt vmcnt(1)
	v_and_b32_e32 v55, 1, v9
	s_waitcnt vmcnt(0)
	v_and_b32_e32 v14, 1, v51
	v_lshlrev_b32_e32 v16, 30, v51
	v_lshlrev_b32_e32 v17, 29, v51
	;; [unrolled: 1-line block ×4, first 2 shown]
	v_add_co_u32 v14, s0, v14, -1
	s_delay_alu instid0(VALU_DEP_1)
	v_writelane_b32 v168, s0, 5
	v_cmp_gt_i32_e64 s0, 0, v16
	v_lshlrev_b32_e32 v20, 26, v51
	v_lshlrev_b32_e32 v21, 25, v51
	;; [unrolled: 1-line block ×4, first 2 shown]
	v_writelane_b32 v168, s0, 6
	v_cmp_gt_i32_e64 s0, 0, v17
	v_and_b32_e32 v25, 1, v52
	v_lshlrev_b32_e32 v26, 30, v52
	v_lshlrev_b32_e32 v27, 29, v52
	;; [unrolled: 1-line block ×3, first 2 shown]
	v_writelane_b32 v168, s0, 7
	v_cmp_gt_i32_e64 s0, 0, v18
	v_lshlrev_b32_e32 v29, 27, v52
	v_lshlrev_b32_e32 v30, 26, v52
	;; [unrolled: 1-line block ×4, first 2 shown]
	v_writelane_b32 v168, s0, 8
	v_cmp_gt_i32_e64 s0, 0, v19
	v_lshlrev_b32_e32 v33, 23, v52
	v_and_b32_e32 v35, 1, v53
	v_lshlrev_b32_e32 v36, 30, v53
	v_lshlrev_b32_e32 v37, 29, v53
	v_writelane_b32 v168, s0, 9
	v_cmp_gt_i32_e64 s0, 0, v20
	v_lshlrev_b32_e32 v38, 28, v53
	v_lshlrev_b32_e32 v39, 27, v53
	;; [unrolled: 1-line block ×4, first 2 shown]
	v_writelane_b32 v168, s0, 10
	v_cmp_gt_i32_e64 s0, 0, v21
	v_lshlrev_b32_e32 v42, 24, v53
	v_lshlrev_b32_e32 v43, 23, v53
	v_and_b32_e32 v45, 1, v54
	v_lshlrev_b32_e32 v46, 30, v54
	v_writelane_b32 v168, s0, 11
	v_cmp_gt_i32_e64 s0, 0, v22
	v_lshlrev_b32_e32 v47, 29, v54
	v_lshlrev_b32_e32 v48, 28, v54
	;; [unrolled: 1-line block ×4, first 2 shown]
	v_writelane_b32 v168, s0, 12
	v_cmp_gt_i32_e64 s0, 0, v23
	v_lshlrev_b32_e32 v24, 2, v51
	v_lshlrev_b32_e32 v51, 25, v54
	;; [unrolled: 1-line block ×4, first 2 shown]
	v_writelane_b32 v168, s0, 13
	v_add_co_u32 v25, s0, v25, -1
	v_lshlrev_b32_e32 v44, 2, v53
	v_lshlrev_b32_e32 v53, 23, v54
	v_writelane_b32 v168, s0, 14
	v_cmp_gt_i32_e64 s0, 0, v26
	v_lshlrev_b32_e32 v56, 30, v9
	v_lshlrev_b32_e32 v57, 29, v9
	v_lshlrev_b32_e32 v58, 28, v9
	v_lshlrev_b32_e32 v59, 27, v9
	v_writelane_b32 v168, s0, 15
	v_cmp_gt_i32_e64 s0, 0, v27
	v_lshlrev_b32_e32 v60, 26, v9
	v_lshlrev_b32_e32 v61, 25, v9
	;; [unrolled: 6-line block ×8, first 2 shown]
	v_lshlrev_b32_e32 v89, 24, v12
	v_lshlrev_b32_e32 v90, 23, v12
	v_writelane_b32 v168, s0, 22
	v_add_co_u32 v35, s0, v35, -1
	v_lshlrev_b32_e32 v93, 29, v5
	v_lshlrev_b32_e32 v94, 28, v5
	v_writelane_b32 v168, s0, 23
	v_cmp_gt_i32_e64 s0, 0, v36
	v_lshlrev_b32_e32 v95, 27, v5
	v_lshlrev_b32_e32 v96, 26, v5
	v_lshlrev_b32_e32 v97, 25, v5
	v_lshlrev_b32_e32 v98, 24, v5
	v_writelane_b32 v168, s0, 24
	v_cmp_gt_i32_e64 s0, 0, v37
	v_lshlrev_b32_e32 v99, 23, v5
	v_lshlrev_b32_e32 v101, 30, v6
	;; [unrolled: 6-line block ×8, first 2 shown]
	v_lshlrev_b32_e32 v130, 28, v1
	v_lshlrev_b32_e32 v131, 27, v1
	v_writelane_b32 v168, s0, 31
	v_add_co_u32 v45, s0, v45, -1
	s_delay_alu instid0(VALU_DEP_1)
	v_writelane_b32 v167, s0, 0
	v_cmp_gt_i32_e64 s0, 0, v46
	v_lshlrev_b32_e32 v132, 26, v1
	v_lshlrev_b32_e32 v133, 25, v1
	v_lshlrev_b32_e32 v134, 24, v1
	v_lshlrev_b32_e32 v135, 23, v1
	v_writelane_b32 v167, s0, 1
	v_cmp_gt_i32_e64 s0, 0, v47
	v_lshlrev_b32_e32 v137, 30, v2
	v_lshlrev_b32_e32 v138, 29, v2
	v_lshlrev_b32_e32 v139, 28, v2
	v_lshlrev_b32_e32 v140, 27, v2
	v_writelane_b32 v167, s0, 2
	v_cmp_gt_i32_e64 s0, 0, v48
	v_lshlrev_b32_e32 v141, 26, v2
	v_lshlrev_b32_e32 v142, 25, v2
	v_lshlrev_b32_e32 v143, 24, v2
	v_lshlrev_b32_e32 v144, 23, v2
	v_writelane_b32 v167, s0, 3
	v_cmp_gt_i32_e64 s0, 0, v49
	v_lshlrev_b32_e32 v146, 30, v3
	v_lshlrev_b32_e32 v147, 29, v3
	v_lshlrev_b32_e32 v148, 28, v3
	v_lshlrev_b32_e32 v149, 27, v3
	v_writelane_b32 v167, s0, 4
	v_cmp_gt_i32_e64 s0, 0, v50
	v_lshlrev_b32_e32 v150, 26, v3
	v_lshlrev_b32_e32 v151, 25, v3
	v_lshlrev_b32_e32 v152, 24, v3
	v_lshlrev_b32_e32 v153, 23, v3
	v_writelane_b32 v167, s0, 5
	v_cmp_gt_i32_e64 s0, 0, v51
	v_lshlrev_b32_e32 v155, 30, v4
	v_lshlrev_b32_e32 v156, 29, v4
	v_lshlrev_b32_e32 v157, 28, v4
	v_lshlrev_b32_e32 v158, 27, v4
	v_writelane_b32 v167, s0, 6
	v_cmp_gt_i32_e64 s0, 0, v52
	v_lshlrev_b32_e32 v159, 26, v4
	v_lshlrev_b32_e32 v160, 25, v4
	v_lshlrev_b32_e32 v161, 24, v4
	v_lshlrev_b32_e32 v162, 23, v4
	v_writelane_b32 v167, s0, 7
	v_cmp_gt_i32_e64 s0, 0, v53
	v_not_b32_e32 v16, v16
	v_not_b32_e32 v17, v17
	;; [unrolled: 1-line block ×4, first 2 shown]
	v_writelane_b32 v167, s0, 8
	v_add_co_u32 v55, s0, v55, -1
	v_not_b32_e32 v20, v20
	v_not_b32_e32 v21, v21
	v_writelane_b32 v167, s0, 9
	v_cmp_gt_i32_e64 s0, 0, v56
	v_not_b32_e32 v22, v22
	v_not_b32_e32 v23, v23
	v_not_b32_e32 v26, v26
	v_not_b32_e32 v27, v27
	v_writelane_b32 v167, s0, 10
	v_cmp_gt_i32_e64 s0, 0, v57
	v_not_b32_e32 v28, v28
	v_not_b32_e32 v29, v29
	;; [unrolled: 6-line block ×4, first 2 shown]
	v_not_b32_e32 v40, v40
	v_not_b32_e32 v41, v41
	;; [unrolled: 1-line block ×15, first 2 shown]
	v_writelane_b32 v167, s0, 13
	v_not_b32_e32 v59, v59
	v_cmp_gt_i32_e64 s37, 0, v60
	v_not_b32_e32 v60, v60
	v_cmp_gt_i32_e64 s38, 0, v61
	v_not_b32_e32 v61, v61
	v_cmp_gt_i32_e64 s39, 0, v62
	v_not_b32_e32 v62, v62
	v_cmp_gt_i32_e64 s40, 0, v63
	v_not_b32_e32 v63, v63
	v_and_b32_e32 v64, 1, v10
	v_cmp_gt_i32_e64 s41, 0, v65
	v_not_b32_e32 v65, v65
	v_cmp_gt_i32_e64 s42, 0, v66
	v_not_b32_e32 v66, v66
	v_cmp_gt_i32_e64 s43, 0, v67
	v_not_b32_e32 v67, v67
	v_cmp_gt_i32_e64 s44, 0, v68
	v_not_b32_e32 v68, v68
	v_cmp_gt_i32_e64 s45, 0, v69
	v_not_b32_e32 v69, v69
	v_cmp_gt_i32_e64 s46, 0, v70
	v_not_b32_e32 v70, v70
	v_cmp_gt_i32_e64 s47, 0, v71
	v_not_b32_e32 v71, v71
	v_cmp_gt_i32_e64 s48, 0, v72
	v_not_b32_e32 v72, v72
	v_and_b32_e32 v73, 1, v11
	v_cmp_gt_i32_e64 s49, 0, v74
	v_not_b32_e32 v74, v74
	v_cmp_gt_i32_e64 s50, 0, v75
	v_not_b32_e32 v75, v75
	v_cmp_gt_i32_e64 s51, 0, v76
	v_not_b32_e32 v76, v76
	v_cmp_gt_i32_e64 s52, 0, v77
	v_not_b32_e32 v77, v77
	v_cmp_gt_i32_e64 s53, 0, v78
	v_not_b32_e32 v78, v78
	v_cmp_gt_i32_e64 s54, 0, v79
	v_not_b32_e32 v79, v79
	v_cmp_gt_i32_e64 s55, 0, v80
	v_not_b32_e32 v80, v80
	v_cmp_gt_i32_e64 s56, 0, v81
	v_not_b32_e32 v81, v81
	v_and_b32_e32 v82, 1, v12
	v_cmp_gt_i32_e64 s57, 0, v83
	v_not_b32_e32 v83, v83
	v_cmp_gt_i32_e64 s58, 0, v84
	v_not_b32_e32 v84, v84
	v_cmp_gt_i32_e64 s59, 0, v85
	v_not_b32_e32 v85, v85
	v_cmp_gt_i32_e64 s60, 0, v86
	v_not_b32_e32 v86, v86
	v_cmp_gt_i32_e64 s61, 0, v87
	v_not_b32_e32 v87, v87
	v_cmp_gt_i32_e64 s62, 0, v88
	v_not_b32_e32 v88, v88
	v_cmp_gt_i32_e64 s63, 0, v89
	v_not_b32_e32 v89, v89
	v_cmp_gt_i32_e64 s64, 0, v90
	v_not_b32_e32 v90, v90
	v_and_b32_e32 v91, 1, v5
	v_cmp_gt_i32_e64 s65, 0, v92
	v_not_b32_e32 v92, v92
	v_cmp_gt_i32_e64 s66, 0, v93
	v_not_b32_e32 v93, v93
	v_cmp_gt_i32_e64 s67, 0, v94
	v_not_b32_e32 v94, v94
	v_cmp_gt_i32_e64 s68, 0, v95
	v_not_b32_e32 v95, v95
	v_cmp_gt_i32_e64 s69, 0, v96
	v_not_b32_e32 v96, v96
	v_cmp_gt_i32_e64 s70, 0, v97
	v_not_b32_e32 v97, v97
	v_cmp_gt_i32_e64 s71, 0, v98
	v_not_b32_e32 v98, v98
	v_cmp_gt_i32_e64 s72, 0, v99
	v_not_b32_e32 v99, v99
	v_and_b32_e32 v100, 1, v6
	v_cmp_gt_i32_e64 s73, 0, v101
	v_not_b32_e32 v101, v101
	v_cmp_gt_i32_e64 s74, 0, v102
	v_not_b32_e32 v102, v102
	v_cmp_gt_i32_e64 s75, 0, v103
	v_not_b32_e32 v103, v103
	v_cmp_gt_i32_e64 s76, 0, v104
	v_not_b32_e32 v104, v104
	v_cmp_gt_i32_e64 s77, 0, v105
	v_not_b32_e32 v105, v105
	v_cmp_gt_i32_e64 s78, 0, v106
	v_not_b32_e32 v106, v106
	v_cmp_gt_i32_e64 s79, 0, v107
	v_not_b32_e32 v107, v107
	v_cmp_gt_i32_e64 s80, 0, v108
	v_not_b32_e32 v108, v108
	v_and_b32_e32 v109, 1, v7
	v_cmp_gt_i32_e64 s81, 0, v110
	v_not_b32_e32 v110, v110
	v_cmp_gt_i32_e64 s82, 0, v111
	v_not_b32_e32 v111, v111
	v_cmp_gt_i32_e64 s83, 0, v112
	v_not_b32_e32 v112, v112
	v_cmp_gt_i32_e64 s84, 0, v113
	v_not_b32_e32 v113, v113
	v_cmp_gt_i32_e64 s85, 0, v114
	v_not_b32_e32 v114, v114
	v_cmp_gt_i32_e64 s86, 0, v115
	v_not_b32_e32 v115, v115
	v_cmp_gt_i32_e64 s87, 0, v116
	v_not_b32_e32 v116, v116
	v_cmp_gt_i32_e64 s88, 0, v117
	v_not_b32_e32 v117, v117
	v_and_b32_e32 v118, 1, v8
	v_cmp_gt_i32_e64 s89, 0, v119
	v_not_b32_e32 v119, v119
	v_cmp_gt_i32_e64 s90, 0, v120
	v_not_b32_e32 v120, v120
	v_cmp_gt_i32_e64 s91, 0, v121
	v_not_b32_e32 v121, v121
	v_cmp_gt_i32_e64 s92, 0, v122
	v_not_b32_e32 v122, v122
	v_cmp_gt_i32_e64 s93, 0, v123
	v_not_b32_e32 v123, v123
	v_cmp_gt_i32_e64 s94, 0, v124
	v_not_b32_e32 v124, v124
	v_cmp_gt_i32_e64 s95, 0, v125
	v_not_b32_e32 v125, v125
	v_cmp_gt_i32_e64 s96, 0, v126
	v_not_b32_e32 v126, v126
	v_and_b32_e32 v127, 1, v1
	v_cmp_gt_i32_e64 s97, 0, v128
	v_not_b32_e32 v128, v128
	v_cmp_gt_i32_e64 s98, 0, v129
	v_not_b32_e32 v129, v129
	v_cmp_gt_i32_e64 s99, 0, v130
	v_not_b32_e32 v130, v130
	v_cmp_gt_i32_e64 s100, 0, v131
	v_not_b32_e32 v131, v131
	v_cmp_gt_i32_e64 s101, 0, v132
	v_not_b32_e32 v132, v132
	v_cmp_gt_i32_e64 s102, 0, v133
	;; [unrolled: 2-line block ×4, first 2 shown]
	v_not_b32_e32 v135, v135
	v_and_b32_e32 v136, 1, v2
	v_cmp_gt_i32_e64 vcc_hi, 0, v137
	v_not_b32_e32 v137, v137
	v_cmp_gt_i32_e64 s1, 0, v138
	v_not_b32_e32 v138, v138
	v_cmp_gt_i32_e64 s2, 0, v139
	;; [unrolled: 2-line block ×7, first 2 shown]
	v_not_b32_e32 v144, v144
	v_and_b32_e32 v145, 1, v3
	v_cmp_gt_i32_e64 s0, 0, v146
	v_not_b32_e32 v146, v146
	v_cmp_gt_i32_e64 s8, 0, v147
	v_not_b32_e32 v147, v147
	;; [unrolled: 2-line block ×8, first 2 shown]
	v_and_b32_e32 v154, 1, v4
	v_cmp_gt_i32_e64 s15, 0, v155
	v_not_b32_e32 v155, v155
	v_cmp_gt_i32_e64 s16, 0, v156
	v_not_b32_e32 v156, v156
	;; [unrolled: 2-line block ×8, first 2 shown]
	v_ashrrev_i32_e32 v16, 31, v16
	v_ashrrev_i32_e32 v17, 31, v17
	;; [unrolled: 1-line block ×32, first 2 shown]
	v_lshlrev_b32_e32 v54, 2, v54
	v_ashrrev_i32_e32 v56, 31, v56
	v_ashrrev_i32_e32 v57, 31, v57
	v_ashrrev_i32_e32 v58, 31, v58
	v_ashrrev_i32_e32 v59, 31, v59
	v_ashrrev_i32_e32 v60, 31, v60
	v_ashrrev_i32_e32 v61, 31, v61
	v_ashrrev_i32_e32 v62, 31, v62
	v_ashrrev_i32_e32 v63, 31, v63
	v_lshlrev_b32_e32 v9, 2, v9
	v_add_co_u32 v64, s25, v64, -1
	v_ashrrev_i32_e32 v65, 31, v65
	v_ashrrev_i32_e32 v66, 31, v66
	v_ashrrev_i32_e32 v67, 31, v67
	v_ashrrev_i32_e32 v68, 31, v68
	v_ashrrev_i32_e32 v69, 31, v69
	v_ashrrev_i32_e32 v70, 31, v70
	v_ashrrev_i32_e32 v71, 31, v71
	v_ashrrev_i32_e32 v72, 31, v72
	v_lshlrev_b32_e32 v10, 2, v10
	v_add_co_u32 v73, s26, v73, -1
	;; [unrolled: 10-line block ×11, first 2 shown]
	v_ashrrev_i32_e32 v155, 31, v155
	v_ashrrev_i32_e32 v156, 31, v156
	;; [unrolled: 1-line block ×8, first 2 shown]
	v_lshlrev_b32_e32 v4, 2, v4
	s_branch .LBB11_2
.LBB11_1:                               ;   in Loop: Header=BB11_2 Depth=1
	s_or_b32 exec_lo, exec_lo, s23
	s_add_i32 s36, s36, -1
	s_waitcnt lgkmcnt(0)
	s_cmp_lg_u32 s36, 0
	s_barrier
	buffer_gl0_inv
	s_cbranch_scc0 .LBB11_36
.LBB11_2:                               ; =>This Inner Loop Header: Depth=1
	s_mov_b32 s23, exec_lo
	v_readlane_b32 vcc_lo, v168, 4
	s_delay_alu instid0(VALU_DEP_1) | instskip(NEXT) | instid1(SALU_CYCLE_1)
	s_and_b32 vcc_lo, s23, vcc_lo
	s_mov_b32 exec_lo, vcc_lo
	s_cbranch_execz .LBB11_4
; %bb.3:                                ;   in Loop: Header=BB11_2 Depth=1
	ds_store_b32 v0, v15
.LBB11_4:                               ;   in Loop: Header=BB11_2 Depth=1
	s_or_b32 exec_lo, exec_lo, s23
	v_readlane_b32 s23, v168, 5
	s_waitcnt lgkmcnt(0)
	s_barrier
	buffer_gl0_inv
	v_cndmask_b32_e64 v163, 0, 1, s23
	v_readlane_b32 s23, v168, 6
	s_delay_alu instid0(VALU_DEP_2) | instskip(NEXT) | instid1(VALU_DEP_2)
	v_cmp_ne_u32_e32 vcc_lo, 0, v163
	v_cndmask_b32_e64 v164, 0, 1, s23
	v_readlane_b32 s23, v168, 7
	s_delay_alu instid0(VALU_DEP_1) | instskip(NEXT) | instid1(VALU_DEP_3)
	v_cndmask_b32_e64 v163, 0, 1, s23
	v_cmp_ne_u32_e64 s23, 0, v164
	v_xor_b32_e32 v164, vcc_lo, v14
	v_readlane_b32 vcc_lo, v168, 8
	s_delay_alu instid0(VALU_DEP_2) | instskip(NEXT) | instid1(VALU_DEP_2)
	v_and_b32_e32 v164, exec_lo, v164
	v_cndmask_b32_e64 v165, 0, 1, vcc_lo
	v_cmp_ne_u32_e32 vcc_lo, 0, v163
	v_xor_b32_e32 v163, s23, v16
	v_readlane_b32 s23, v168, 9
	s_delay_alu instid0(VALU_DEP_2) | instskip(NEXT) | instid1(VALU_DEP_2)
	v_and_b32_e32 v163, v164, v163
	v_cndmask_b32_e64 v166, 0, 1, s23
	v_cmp_ne_u32_e64 s23, 0, v165
	v_xor_b32_e32 v165, vcc_lo, v17
	v_readlane_b32 vcc_lo, v168, 10
	s_delay_alu instid0(VALU_DEP_2) | instskip(NEXT) | instid1(VALU_DEP_2)
	v_and_b32_e32 v163, v163, v165
	v_cndmask_b32_e64 v164, 0, 1, vcc_lo
	v_cmp_ne_u32_e32 vcc_lo, 0, v166
	v_xor_b32_e32 v166, s23, v18
	v_readlane_b32 s23, v168, 11
	s_delay_alu instid0(VALU_DEP_2) | instskip(NEXT) | instid1(VALU_DEP_2)
	v_and_b32_e32 v163, v163, v166
	v_cndmask_b32_e64 v165, 0, 1, s23
	v_cmp_ne_u32_e64 s23, 0, v164
	v_xor_b32_e32 v164, vcc_lo, v19
	v_readlane_b32 vcc_lo, v168, 12
	s_delay_alu instid0(VALU_DEP_2) | instskip(NEXT) | instid1(VALU_DEP_2)
	v_and_b32_e32 v163, v163, v164
	v_cndmask_b32_e64 v166, 0, 1, vcc_lo
	v_cmp_ne_u32_e32 vcc_lo, 0, v165
	v_xor_b32_e32 v165, s23, v20
	s_delay_alu instid0(VALU_DEP_3) | instskip(SKIP_2) | instid1(VALU_DEP_4)
	v_cmp_ne_u32_e64 s23, 0, v166
	v_xor_b32_e32 v164, vcc_lo, v21
	v_readlane_b32 vcc_lo, v168, 13
	v_and_b32_e32 v163, v163, v165
	s_delay_alu instid0(VALU_DEP_4) | instskip(SKIP_1) | instid1(VALU_DEP_3)
	v_xor_b32_e32 v166, s23, v22
	s_mov_b32 s23, exec_lo
	v_cndmask_b32_e64 v165, 0, 1, vcc_lo
	s_delay_alu instid0(VALU_DEP_3) | instskip(NEXT) | instid1(VALU_DEP_2)
	v_and_b32_e32 v163, v163, v164
	v_cmp_ne_u32_e32 vcc_lo, 0, v165
	s_delay_alu instid0(VALU_DEP_2) | instskip(SKIP_1) | instid1(VALU_DEP_1)
	v_and_b32_e32 v163, v163, v166
	v_xor_b32_e32 v164, vcc_lo, v23
	v_and_b32_e32 v163, v163, v164
	s_delay_alu instid0(VALU_DEP_1) | instskip(NEXT) | instid1(VALU_DEP_1)
	v_mbcnt_lo_u32_b32 v164, v163, 0
	v_cmpx_eq_u32_e32 0, v164
	s_cbranch_execz .LBB11_6
; %bb.5:                                ;   in Loop: Header=BB11_2 Depth=1
	v_bcnt_u32_b32 v163, v163, 0
	ds_add_u32 v24, v163
.LBB11_6:                               ;   in Loop: Header=BB11_2 Depth=1
	s_or_b32 exec_lo, exec_lo, s23
	v_readlane_b32 s23, v168, 14
	s_delay_alu instid0(VALU_DEP_1) | instskip(SKIP_1) | instid1(VALU_DEP_2)
	v_cndmask_b32_e64 v163, 0, 1, s23
	v_readlane_b32 s23, v168, 15
	v_cmp_ne_u32_e32 vcc_lo, 0, v163
	s_delay_alu instid0(VALU_DEP_2) | instskip(SKIP_1) | instid1(VALU_DEP_1)
	v_cndmask_b32_e64 v164, 0, 1, s23
	v_readlane_b32 s23, v168, 16
	v_cndmask_b32_e64 v163, 0, 1, s23
	s_delay_alu instid0(VALU_DEP_3) | instskip(SKIP_2) | instid1(VALU_DEP_2)
	v_cmp_ne_u32_e64 s23, 0, v164
	v_xor_b32_e32 v164, vcc_lo, v25
	v_readlane_b32 vcc_lo, v168, 17
	v_and_b32_e32 v164, exec_lo, v164
	s_delay_alu instid0(VALU_DEP_2) | instskip(SKIP_3) | instid1(VALU_DEP_2)
	v_cndmask_b32_e64 v165, 0, 1, vcc_lo
	v_cmp_ne_u32_e32 vcc_lo, 0, v163
	v_xor_b32_e32 v163, s23, v26
	v_readlane_b32 s23, v168, 18
	v_and_b32_e32 v163, v164, v163
	s_delay_alu instid0(VALU_DEP_2) | instskip(SKIP_3) | instid1(VALU_DEP_2)
	v_cndmask_b32_e64 v166, 0, 1, s23
	v_cmp_ne_u32_e64 s23, 0, v165
	v_xor_b32_e32 v165, vcc_lo, v27
	v_readlane_b32 vcc_lo, v168, 19
	v_and_b32_e32 v163, v163, v165
	s_delay_alu instid0(VALU_DEP_2) | instskip(SKIP_3) | instid1(VALU_DEP_2)
	v_cndmask_b32_e64 v164, 0, 1, vcc_lo
	v_cmp_ne_u32_e32 vcc_lo, 0, v166
	v_xor_b32_e32 v166, s23, v28
	v_readlane_b32 s23, v168, 20
	v_and_b32_e32 v163, v163, v166
	s_delay_alu instid0(VALU_DEP_2) | instskip(SKIP_3) | instid1(VALU_DEP_2)
	v_cndmask_b32_e64 v165, 0, 1, s23
	v_cmp_ne_u32_e64 s23, 0, v164
	v_xor_b32_e32 v164, vcc_lo, v29
	v_readlane_b32 vcc_lo, v168, 21
	v_and_b32_e32 v163, v163, v164
	s_delay_alu instid0(VALU_DEP_2) | instskip(SKIP_2) | instid1(VALU_DEP_3)
	v_cndmask_b32_e64 v166, 0, 1, vcc_lo
	v_cmp_ne_u32_e32 vcc_lo, 0, v165
	v_xor_b32_e32 v165, s23, v30
	v_cmp_ne_u32_e64 s23, 0, v166
	v_xor_b32_e32 v164, vcc_lo, v31
	v_readlane_b32 vcc_lo, v168, 22
	s_delay_alu instid0(VALU_DEP_4) | instskip(NEXT) | instid1(VALU_DEP_4)
	v_and_b32_e32 v163, v163, v165
	v_xor_b32_e32 v166, s23, v32
	s_mov_b32 s23, exec_lo
	s_delay_alu instid0(VALU_DEP_3) | instskip(NEXT) | instid1(VALU_DEP_3)
	v_cndmask_b32_e64 v165, 0, 1, vcc_lo
	v_and_b32_e32 v163, v163, v164
	s_delay_alu instid0(VALU_DEP_2) | instskip(NEXT) | instid1(VALU_DEP_2)
	v_cmp_ne_u32_e32 vcc_lo, 0, v165
	v_and_b32_e32 v163, v163, v166
	v_xor_b32_e32 v164, vcc_lo, v33
	s_delay_alu instid0(VALU_DEP_1) | instskip(NEXT) | instid1(VALU_DEP_1)
	v_and_b32_e32 v163, v163, v164
	v_mbcnt_lo_u32_b32 v164, v163, 0
	s_delay_alu instid0(VALU_DEP_1)
	v_cmpx_eq_u32_e32 0, v164
	s_cbranch_execz .LBB11_8
; %bb.7:                                ;   in Loop: Header=BB11_2 Depth=1
	v_bcnt_u32_b32 v163, v163, 0
	ds_add_u32 v34, v163
.LBB11_8:                               ;   in Loop: Header=BB11_2 Depth=1
	s_or_b32 exec_lo, exec_lo, s23
	v_readlane_b32 s23, v168, 23
	s_delay_alu instid0(VALU_DEP_1) | instskip(SKIP_1) | instid1(VALU_DEP_2)
	v_cndmask_b32_e64 v163, 0, 1, s23
	v_readlane_b32 s23, v168, 24
	v_cmp_ne_u32_e32 vcc_lo, 0, v163
	s_delay_alu instid0(VALU_DEP_2) | instskip(SKIP_1) | instid1(VALU_DEP_1)
	v_cndmask_b32_e64 v164, 0, 1, s23
	v_readlane_b32 s23, v168, 25
	v_cndmask_b32_e64 v163, 0, 1, s23
	s_delay_alu instid0(VALU_DEP_3) | instskip(SKIP_2) | instid1(VALU_DEP_2)
	v_cmp_ne_u32_e64 s23, 0, v164
	v_xor_b32_e32 v164, vcc_lo, v35
	v_readlane_b32 vcc_lo, v168, 26
	v_and_b32_e32 v164, exec_lo, v164
	s_delay_alu instid0(VALU_DEP_2) | instskip(SKIP_3) | instid1(VALU_DEP_2)
	v_cndmask_b32_e64 v165, 0, 1, vcc_lo
	v_cmp_ne_u32_e32 vcc_lo, 0, v163
	v_xor_b32_e32 v163, s23, v36
	v_readlane_b32 s23, v168, 27
	v_and_b32_e32 v163, v164, v163
	s_delay_alu instid0(VALU_DEP_2) | instskip(SKIP_3) | instid1(VALU_DEP_2)
	v_cndmask_b32_e64 v166, 0, 1, s23
	v_cmp_ne_u32_e64 s23, 0, v165
	v_xor_b32_e32 v165, vcc_lo, v37
	v_readlane_b32 vcc_lo, v168, 28
	v_and_b32_e32 v163, v163, v165
	s_delay_alu instid0(VALU_DEP_2) | instskip(SKIP_3) | instid1(VALU_DEP_2)
	v_cndmask_b32_e64 v164, 0, 1, vcc_lo
	v_cmp_ne_u32_e32 vcc_lo, 0, v166
	v_xor_b32_e32 v166, s23, v38
	v_readlane_b32 s23, v168, 29
	v_and_b32_e32 v163, v163, v166
	s_delay_alu instid0(VALU_DEP_2) | instskip(SKIP_3) | instid1(VALU_DEP_2)
	v_cndmask_b32_e64 v165, 0, 1, s23
	v_cmp_ne_u32_e64 s23, 0, v164
	v_xor_b32_e32 v164, vcc_lo, v39
	v_readlane_b32 vcc_lo, v168, 30
	v_and_b32_e32 v163, v163, v164
	s_delay_alu instid0(VALU_DEP_2) | instskip(SKIP_2) | instid1(VALU_DEP_3)
	v_cndmask_b32_e64 v166, 0, 1, vcc_lo
	v_cmp_ne_u32_e32 vcc_lo, 0, v165
	v_xor_b32_e32 v165, s23, v40
	v_cmp_ne_u32_e64 s23, 0, v166
	v_xor_b32_e32 v164, vcc_lo, v41
	v_readlane_b32 vcc_lo, v168, 31
	s_delay_alu instid0(VALU_DEP_4) | instskip(NEXT) | instid1(VALU_DEP_4)
	v_and_b32_e32 v163, v163, v165
	v_xor_b32_e32 v166, s23, v42
	s_mov_b32 s23, exec_lo
	s_delay_alu instid0(VALU_DEP_3) | instskip(NEXT) | instid1(VALU_DEP_3)
	v_cndmask_b32_e64 v165, 0, 1, vcc_lo
	v_and_b32_e32 v163, v163, v164
	s_delay_alu instid0(VALU_DEP_2) | instskip(NEXT) | instid1(VALU_DEP_2)
	v_cmp_ne_u32_e32 vcc_lo, 0, v165
	v_and_b32_e32 v163, v163, v166
	v_xor_b32_e32 v164, vcc_lo, v43
	s_delay_alu instid0(VALU_DEP_1) | instskip(NEXT) | instid1(VALU_DEP_1)
	v_and_b32_e32 v163, v163, v164
	v_mbcnt_lo_u32_b32 v164, v163, 0
	s_delay_alu instid0(VALU_DEP_1)
	v_cmpx_eq_u32_e32 0, v164
	s_cbranch_execz .LBB11_10
; %bb.9:                                ;   in Loop: Header=BB11_2 Depth=1
	v_bcnt_u32_b32 v163, v163, 0
	ds_add_u32 v44, v163
.LBB11_10:                              ;   in Loop: Header=BB11_2 Depth=1
	s_or_b32 exec_lo, exec_lo, s23
	v_readlane_b32 s23, v167, 0
	s_delay_alu instid0(VALU_DEP_1) | instskip(SKIP_1) | instid1(VALU_DEP_2)
	v_cndmask_b32_e64 v163, 0, 1, s23
	v_readlane_b32 s23, v167, 1
	v_cmp_ne_u32_e32 vcc_lo, 0, v163
	s_delay_alu instid0(VALU_DEP_2) | instskip(SKIP_1) | instid1(VALU_DEP_1)
	v_cndmask_b32_e64 v164, 0, 1, s23
	v_readlane_b32 s23, v167, 2
	v_cndmask_b32_e64 v163, 0, 1, s23
	s_delay_alu instid0(VALU_DEP_3) | instskip(SKIP_2) | instid1(VALU_DEP_2)
	v_cmp_ne_u32_e64 s23, 0, v164
	v_xor_b32_e32 v164, vcc_lo, v45
	v_readlane_b32 vcc_lo, v167, 3
	v_and_b32_e32 v164, exec_lo, v164
	s_delay_alu instid0(VALU_DEP_2) | instskip(SKIP_3) | instid1(VALU_DEP_2)
	v_cndmask_b32_e64 v165, 0, 1, vcc_lo
	v_cmp_ne_u32_e32 vcc_lo, 0, v163
	v_xor_b32_e32 v163, s23, v46
	v_readlane_b32 s23, v167, 4
	v_and_b32_e32 v163, v164, v163
	s_delay_alu instid0(VALU_DEP_2) | instskip(SKIP_3) | instid1(VALU_DEP_2)
	v_cndmask_b32_e64 v166, 0, 1, s23
	v_cmp_ne_u32_e64 s23, 0, v165
	v_xor_b32_e32 v165, vcc_lo, v47
	v_readlane_b32 vcc_lo, v167, 5
	v_and_b32_e32 v163, v163, v165
	s_delay_alu instid0(VALU_DEP_2) | instskip(SKIP_3) | instid1(VALU_DEP_2)
	v_cndmask_b32_e64 v164, 0, 1, vcc_lo
	v_cmp_ne_u32_e32 vcc_lo, 0, v166
	v_xor_b32_e32 v166, s23, v48
	v_readlane_b32 s23, v167, 6
	v_and_b32_e32 v163, v163, v166
	s_delay_alu instid0(VALU_DEP_2) | instskip(SKIP_3) | instid1(VALU_DEP_2)
	v_cndmask_b32_e64 v165, 0, 1, s23
	v_cmp_ne_u32_e64 s23, 0, v164
	v_xor_b32_e32 v164, vcc_lo, v49
	v_readlane_b32 vcc_lo, v167, 7
	v_and_b32_e32 v163, v163, v164
	s_delay_alu instid0(VALU_DEP_2) | instskip(SKIP_2) | instid1(VALU_DEP_3)
	v_cndmask_b32_e64 v166, 0, 1, vcc_lo
	v_cmp_ne_u32_e32 vcc_lo, 0, v165
	v_xor_b32_e32 v165, s23, v50
	v_cmp_ne_u32_e64 s23, 0, v166
	v_xor_b32_e32 v164, vcc_lo, v51
	v_readlane_b32 vcc_lo, v167, 8
	s_delay_alu instid0(VALU_DEP_4) | instskip(NEXT) | instid1(VALU_DEP_4)
	v_and_b32_e32 v163, v163, v165
	v_xor_b32_e32 v166, s23, v52
	s_mov_b32 s23, exec_lo
	s_delay_alu instid0(VALU_DEP_3) | instskip(NEXT) | instid1(VALU_DEP_3)
	v_cndmask_b32_e64 v165, 0, 1, vcc_lo
	v_and_b32_e32 v163, v163, v164
	s_delay_alu instid0(VALU_DEP_2) | instskip(NEXT) | instid1(VALU_DEP_2)
	v_cmp_ne_u32_e32 vcc_lo, 0, v165
	v_and_b32_e32 v163, v163, v166
	v_xor_b32_e32 v164, vcc_lo, v53
	s_delay_alu instid0(VALU_DEP_1) | instskip(NEXT) | instid1(VALU_DEP_1)
	v_and_b32_e32 v163, v163, v164
	v_mbcnt_lo_u32_b32 v164, v163, 0
	s_delay_alu instid0(VALU_DEP_1)
	v_cmpx_eq_u32_e32 0, v164
	s_cbranch_execz .LBB11_12
; %bb.11:                               ;   in Loop: Header=BB11_2 Depth=1
	v_bcnt_u32_b32 v163, v163, 0
	ds_add_u32 v54, v163
.LBB11_12:                              ;   in Loop: Header=BB11_2 Depth=1
	s_or_b32 exec_lo, exec_lo, s23
	v_readlane_b32 s23, v167, 9
	s_delay_alu instid0(VALU_DEP_1) | instskip(SKIP_1) | instid1(VALU_DEP_2)
	v_cndmask_b32_e64 v163, 0, 1, s23
	v_readlane_b32 s23, v167, 10
	v_cmp_ne_u32_e32 vcc_lo, 0, v163
	s_delay_alu instid0(VALU_DEP_2) | instskip(SKIP_1) | instid1(VALU_DEP_1)
	v_cndmask_b32_e64 v164, 0, 1, s23
	v_readlane_b32 s23, v167, 11
	v_cndmask_b32_e64 v163, 0, 1, s23
	s_delay_alu instid0(VALU_DEP_3) | instskip(SKIP_2) | instid1(VALU_DEP_2)
	v_cmp_ne_u32_e64 s23, 0, v164
	v_xor_b32_e32 v164, vcc_lo, v55
	v_readlane_b32 vcc_lo, v167, 12
	v_and_b32_e32 v164, exec_lo, v164
	s_delay_alu instid0(VALU_DEP_2) | instskip(SKIP_3) | instid1(VALU_DEP_2)
	v_cndmask_b32_e64 v165, 0, 1, vcc_lo
	v_cmp_ne_u32_e32 vcc_lo, 0, v163
	v_xor_b32_e32 v163, s23, v56
	v_readlane_b32 s23, v167, 13
	v_and_b32_e32 v163, v164, v163
	s_delay_alu instid0(VALU_DEP_2) | instskip(SKIP_3) | instid1(VALU_DEP_4)
	v_cndmask_b32_e64 v166, 0, 1, s23
	v_cmp_ne_u32_e64 s23, 0, v165
	v_xor_b32_e32 v165, vcc_lo, v57
	v_cndmask_b32_e64 v164, 0, 1, s37
	v_cmp_ne_u32_e32 vcc_lo, 0, v166
	s_delay_alu instid0(VALU_DEP_4) | instskip(NEXT) | instid1(VALU_DEP_4)
	v_xor_b32_e32 v166, s23, v58
	v_and_b32_e32 v163, v163, v165
	v_cndmask_b32_e64 v165, 0, 1, s38
	v_cmp_ne_u32_e64 s23, 0, v164
	v_xor_b32_e32 v164, vcc_lo, v59
	s_delay_alu instid0(VALU_DEP_4) | instskip(SKIP_3) | instid1(VALU_DEP_4)
	v_and_b32_e32 v163, v163, v166
	v_cndmask_b32_e64 v166, 0, 1, s39
	v_cmp_ne_u32_e32 vcc_lo, 0, v165
	v_xor_b32_e32 v165, s23, v60
	v_and_b32_e32 v163, v163, v164
	s_delay_alu instid0(VALU_DEP_4) | instskip(SKIP_1) | instid1(VALU_DEP_3)
	v_cmp_ne_u32_e64 s23, 0, v166
	v_xor_b32_e32 v164, vcc_lo, v61
	v_and_b32_e32 v163, v163, v165
	v_cndmask_b32_e64 v165, 0, 1, s40
	s_delay_alu instid0(VALU_DEP_4) | instskip(SKIP_1) | instid1(VALU_DEP_3)
	v_xor_b32_e32 v166, s23, v62
	s_mov_b32 s23, exec_lo
	v_and_b32_e32 v163, v163, v164
	s_delay_alu instid0(VALU_DEP_3) | instskip(NEXT) | instid1(VALU_DEP_2)
	v_cmp_ne_u32_e32 vcc_lo, 0, v165
	v_and_b32_e32 v163, v163, v166
	v_xor_b32_e32 v164, vcc_lo, v63
	s_delay_alu instid0(VALU_DEP_1) | instskip(NEXT) | instid1(VALU_DEP_1)
	v_and_b32_e32 v163, v163, v164
	v_mbcnt_lo_u32_b32 v164, v163, 0
	s_delay_alu instid0(VALU_DEP_1)
	v_cmpx_eq_u32_e32 0, v164
	s_cbranch_execz .LBB11_14
; %bb.13:                               ;   in Loop: Header=BB11_2 Depth=1
	v_bcnt_u32_b32 v163, v163, 0
	ds_add_u32 v9, v163
.LBB11_14:                              ;   in Loop: Header=BB11_2 Depth=1
	s_or_b32 exec_lo, exec_lo, s23
	v_cndmask_b32_e64 v163, 0, 1, s25
	v_cndmask_b32_e64 v164, 0, 1, s41
	v_cndmask_b32_e64 v165, 0, 1, s43
	v_cndmask_b32_e64 v166, 0, 1, s44
	s_delay_alu instid0(VALU_DEP_4) | instskip(SKIP_3) | instid1(VALU_DEP_3)
	v_cmp_ne_u32_e32 vcc_lo, 0, v163
	v_cndmask_b32_e64 v163, 0, 1, s42
	v_cmp_ne_u32_e64 s23, 0, v164
	v_xor_b32_e32 v164, vcc_lo, v64
	v_cmp_ne_u32_e32 vcc_lo, 0, v163
	s_delay_alu instid0(VALU_DEP_3) | instskip(SKIP_1) | instid1(VALU_DEP_4)
	v_xor_b32_e32 v163, s23, v65
	v_cmp_ne_u32_e64 s23, 0, v165
	v_and_b32_e32 v164, exec_lo, v164
	v_xor_b32_e32 v165, vcc_lo, v66
	v_cmp_ne_u32_e32 vcc_lo, 0, v166
	s_delay_alu instid0(VALU_DEP_4) | instskip(NEXT) | instid1(VALU_DEP_4)
	v_xor_b32_e32 v166, s23, v67
	v_and_b32_e32 v163, v164, v163
	v_cndmask_b32_e64 v164, 0, 1, s45
	s_delay_alu instid0(VALU_DEP_2) | instskip(SKIP_1) | instid1(VALU_DEP_3)
	v_and_b32_e32 v163, v163, v165
	v_cndmask_b32_e64 v165, 0, 1, s46
	v_cmp_ne_u32_e64 s23, 0, v164
	v_xor_b32_e32 v164, vcc_lo, v68
	s_delay_alu instid0(VALU_DEP_4) | instskip(SKIP_3) | instid1(VALU_DEP_4)
	v_and_b32_e32 v163, v163, v166
	v_cndmask_b32_e64 v166, 0, 1, s47
	v_cmp_ne_u32_e32 vcc_lo, 0, v165
	v_xor_b32_e32 v165, s23, v69
	v_and_b32_e32 v163, v163, v164
	s_delay_alu instid0(VALU_DEP_4) | instskip(SKIP_1) | instid1(VALU_DEP_3)
	v_cmp_ne_u32_e64 s23, 0, v166
	v_xor_b32_e32 v164, vcc_lo, v70
	v_and_b32_e32 v163, v163, v165
	v_cndmask_b32_e64 v165, 0, 1, s48
	s_delay_alu instid0(VALU_DEP_4) | instskip(SKIP_1) | instid1(VALU_DEP_3)
	v_xor_b32_e32 v166, s23, v71
	s_mov_b32 s23, exec_lo
	v_and_b32_e32 v163, v163, v164
	s_delay_alu instid0(VALU_DEP_3) | instskip(NEXT) | instid1(VALU_DEP_2)
	v_cmp_ne_u32_e32 vcc_lo, 0, v165
	v_and_b32_e32 v163, v163, v166
	v_xor_b32_e32 v164, vcc_lo, v72
	s_delay_alu instid0(VALU_DEP_1) | instskip(NEXT) | instid1(VALU_DEP_1)
	v_and_b32_e32 v163, v163, v164
	v_mbcnt_lo_u32_b32 v164, v163, 0
	s_delay_alu instid0(VALU_DEP_1)
	v_cmpx_eq_u32_e32 0, v164
	s_cbranch_execz .LBB11_16
; %bb.15:                               ;   in Loop: Header=BB11_2 Depth=1
	v_bcnt_u32_b32 v163, v163, 0
	ds_add_u32 v10, v163
.LBB11_16:                              ;   in Loop: Header=BB11_2 Depth=1
	s_or_b32 exec_lo, exec_lo, s23
	v_cndmask_b32_e64 v163, 0, 1, s26
	v_cndmask_b32_e64 v164, 0, 1, s49
	v_cndmask_b32_e64 v165, 0, 1, s51
	v_cndmask_b32_e64 v166, 0, 1, s52
	s_delay_alu instid0(VALU_DEP_4) | instskip(SKIP_3) | instid1(VALU_DEP_3)
	v_cmp_ne_u32_e32 vcc_lo, 0, v163
	v_cndmask_b32_e64 v163, 0, 1, s50
	v_cmp_ne_u32_e64 s23, 0, v164
	v_xor_b32_e32 v164, vcc_lo, v73
	v_cmp_ne_u32_e32 vcc_lo, 0, v163
	s_delay_alu instid0(VALU_DEP_3) | instskip(SKIP_1) | instid1(VALU_DEP_4)
	v_xor_b32_e32 v163, s23, v74
	v_cmp_ne_u32_e64 s23, 0, v165
	v_and_b32_e32 v164, exec_lo, v164
	v_xor_b32_e32 v165, vcc_lo, v75
	v_cmp_ne_u32_e32 vcc_lo, 0, v166
	s_delay_alu instid0(VALU_DEP_4) | instskip(NEXT) | instid1(VALU_DEP_4)
	v_xor_b32_e32 v166, s23, v76
	v_and_b32_e32 v163, v164, v163
	v_cndmask_b32_e64 v164, 0, 1, s53
	s_delay_alu instid0(VALU_DEP_2) | instskip(SKIP_1) | instid1(VALU_DEP_3)
	;; [unrolled: 55-line block ×8, first 2 shown]
	v_and_b32_e32 v163, v163, v165
	v_cndmask_b32_e64 v165, 0, 1, s102
	v_cmp_ne_u32_e64 s23, 0, v164
	v_xor_b32_e32 v164, vcc_lo, v131
	s_delay_alu instid0(VALU_DEP_4) | instskip(SKIP_3) | instid1(VALU_DEP_4)
	v_and_b32_e32 v163, v163, v166
	v_cndmask_b32_e64 v166, 0, 1, s103
	v_cmp_ne_u32_e32 vcc_lo, 0, v165
	v_xor_b32_e32 v165, s23, v132
	v_and_b32_e32 v163, v163, v164
	s_delay_alu instid0(VALU_DEP_4) | instskip(SKIP_1) | instid1(VALU_DEP_3)
	v_cmp_ne_u32_e64 s23, 0, v166
	v_xor_b32_e32 v164, vcc_lo, v133
	v_and_b32_e32 v163, v163, v165
	v_cndmask_b32_e64 v165, 0, 1, s104
	s_delay_alu instid0(VALU_DEP_4) | instskip(SKIP_1) | instid1(VALU_DEP_3)
	v_xor_b32_e32 v166, s23, v134
	s_mov_b32 s23, exec_lo
	v_and_b32_e32 v163, v163, v164
	s_delay_alu instid0(VALU_DEP_3) | instskip(NEXT) | instid1(VALU_DEP_2)
	v_cmp_ne_u32_e32 vcc_lo, 0, v165
	v_and_b32_e32 v163, v163, v166
	v_xor_b32_e32 v164, vcc_lo, v135
	s_delay_alu instid0(VALU_DEP_1) | instskip(NEXT) | instid1(VALU_DEP_1)
	v_and_b32_e32 v163, v163, v164
	v_mbcnt_lo_u32_b32 v164, v163, 0
	s_delay_alu instid0(VALU_DEP_1)
	v_cmpx_eq_u32_e32 0, v164
	s_cbranch_execz .LBB11_30
; %bb.29:                               ;   in Loop: Header=BB11_2 Depth=1
	v_bcnt_u32_b32 v163, v163, 0
	ds_add_u32 v1, v163
.LBB11_30:                              ;   in Loop: Header=BB11_2 Depth=1
	s_or_b32 exec_lo, exec_lo, s23
	v_cndmask_b32_e64 v163, 0, 1, s33
	v_cndmask_b32_e64 v164, 0, 1, vcc_hi
	v_cndmask_b32_e64 v165, 0, 1, s2
	v_cndmask_b32_e64 v166, 0, 1, s3
	s_delay_alu instid0(VALU_DEP_4) | instskip(SKIP_3) | instid1(VALU_DEP_3)
	v_cmp_ne_u32_e32 vcc_lo, 0, v163
	v_cndmask_b32_e64 v163, 0, 1, s1
	v_cmp_ne_u32_e64 s23, 0, v164
	v_xor_b32_e32 v164, vcc_lo, v136
	v_cmp_ne_u32_e32 vcc_lo, 0, v163
	s_delay_alu instid0(VALU_DEP_3) | instskip(SKIP_1) | instid1(VALU_DEP_4)
	v_xor_b32_e32 v163, s23, v137
	v_cmp_ne_u32_e64 s23, 0, v165
	v_and_b32_e32 v164, exec_lo, v164
	v_xor_b32_e32 v165, vcc_lo, v138
	v_cmp_ne_u32_e32 vcc_lo, 0, v166
	s_delay_alu instid0(VALU_DEP_4) | instskip(NEXT) | instid1(VALU_DEP_4)
	v_xor_b32_e32 v166, s23, v139
	v_and_b32_e32 v163, v164, v163
	v_cndmask_b32_e64 v164, 0, 1, s4
	s_delay_alu instid0(VALU_DEP_2) | instskip(SKIP_1) | instid1(VALU_DEP_3)
	v_and_b32_e32 v163, v163, v165
	v_cndmask_b32_e64 v165, 0, 1, s5
	v_cmp_ne_u32_e64 s23, 0, v164
	v_xor_b32_e32 v164, vcc_lo, v140
	s_delay_alu instid0(VALU_DEP_4) | instskip(SKIP_3) | instid1(VALU_DEP_4)
	v_and_b32_e32 v163, v163, v166
	v_cndmask_b32_e64 v166, 0, 1, s6
	v_cmp_ne_u32_e32 vcc_lo, 0, v165
	v_xor_b32_e32 v165, s23, v141
	v_and_b32_e32 v163, v163, v164
	s_delay_alu instid0(VALU_DEP_4) | instskip(SKIP_1) | instid1(VALU_DEP_3)
	v_cmp_ne_u32_e64 s23, 0, v166
	v_xor_b32_e32 v164, vcc_lo, v142
	v_and_b32_e32 v163, v163, v165
	v_cndmask_b32_e64 v165, 0, 1, s7
	s_delay_alu instid0(VALU_DEP_4) | instskip(SKIP_1) | instid1(VALU_DEP_3)
	v_xor_b32_e32 v166, s23, v143
	s_mov_b32 s23, exec_lo
	v_and_b32_e32 v163, v163, v164
	s_delay_alu instid0(VALU_DEP_3) | instskip(NEXT) | instid1(VALU_DEP_2)
	v_cmp_ne_u32_e32 vcc_lo, 0, v165
	v_and_b32_e32 v163, v163, v166
	v_xor_b32_e32 v164, vcc_lo, v144
	s_delay_alu instid0(VALU_DEP_1) | instskip(NEXT) | instid1(VALU_DEP_1)
	v_and_b32_e32 v163, v163, v164
	v_mbcnt_lo_u32_b32 v164, v163, 0
	s_delay_alu instid0(VALU_DEP_1)
	v_cmpx_eq_u32_e32 0, v164
	s_cbranch_execz .LBB11_32
; %bb.31:                               ;   in Loop: Header=BB11_2 Depth=1
	v_bcnt_u32_b32 v163, v163, 0
	ds_add_u32 v2, v163
.LBB11_32:                              ;   in Loop: Header=BB11_2 Depth=1
	s_or_b32 exec_lo, exec_lo, s23
	v_cndmask_b32_e64 v163, 0, 1, s34
	v_cndmask_b32_e64 v164, 0, 1, s0
	;; [unrolled: 1-line block ×4, first 2 shown]
	s_delay_alu instid0(VALU_DEP_4) | instskip(SKIP_3) | instid1(VALU_DEP_3)
	v_cmp_ne_u32_e32 vcc_lo, 0, v163
	v_cndmask_b32_e64 v163, 0, 1, s8
	v_cmp_ne_u32_e64 s23, 0, v164
	v_xor_b32_e32 v164, vcc_lo, v145
	v_cmp_ne_u32_e32 vcc_lo, 0, v163
	s_delay_alu instid0(VALU_DEP_3) | instskip(SKIP_1) | instid1(VALU_DEP_4)
	v_xor_b32_e32 v163, s23, v146
	v_cmp_ne_u32_e64 s23, 0, v165
	v_and_b32_e32 v164, exec_lo, v164
	v_xor_b32_e32 v165, vcc_lo, v147
	v_cmp_ne_u32_e32 vcc_lo, 0, v166
	s_delay_alu instid0(VALU_DEP_4) | instskip(NEXT) | instid1(VALU_DEP_4)
	v_xor_b32_e32 v166, s23, v148
	v_and_b32_e32 v163, v164, v163
	v_cndmask_b32_e64 v164, 0, 1, s11
	s_delay_alu instid0(VALU_DEP_2) | instskip(SKIP_1) | instid1(VALU_DEP_3)
	v_and_b32_e32 v163, v163, v165
	v_cndmask_b32_e64 v165, 0, 1, s12
	v_cmp_ne_u32_e64 s23, 0, v164
	v_xor_b32_e32 v164, vcc_lo, v149
	s_delay_alu instid0(VALU_DEP_4) | instskip(SKIP_3) | instid1(VALU_DEP_4)
	v_and_b32_e32 v163, v163, v166
	v_cndmask_b32_e64 v166, 0, 1, s13
	v_cmp_ne_u32_e32 vcc_lo, 0, v165
	v_xor_b32_e32 v165, s23, v150
	v_and_b32_e32 v163, v163, v164
	s_delay_alu instid0(VALU_DEP_4) | instskip(SKIP_1) | instid1(VALU_DEP_3)
	v_cmp_ne_u32_e64 s23, 0, v166
	v_xor_b32_e32 v164, vcc_lo, v151
	v_and_b32_e32 v163, v163, v165
	v_cndmask_b32_e64 v165, 0, 1, s14
	s_delay_alu instid0(VALU_DEP_4) | instskip(SKIP_1) | instid1(VALU_DEP_3)
	v_xor_b32_e32 v166, s23, v152
	s_mov_b32 s23, exec_lo
	v_and_b32_e32 v163, v163, v164
	s_delay_alu instid0(VALU_DEP_3) | instskip(NEXT) | instid1(VALU_DEP_2)
	v_cmp_ne_u32_e32 vcc_lo, 0, v165
	v_and_b32_e32 v163, v163, v166
	v_xor_b32_e32 v164, vcc_lo, v153
	s_delay_alu instid0(VALU_DEP_1) | instskip(NEXT) | instid1(VALU_DEP_1)
	v_and_b32_e32 v163, v163, v164
	v_mbcnt_lo_u32_b32 v164, v163, 0
	s_delay_alu instid0(VALU_DEP_1)
	v_cmpx_eq_u32_e32 0, v164
	s_cbranch_execz .LBB11_34
; %bb.33:                               ;   in Loop: Header=BB11_2 Depth=1
	v_bcnt_u32_b32 v163, v163, 0
	ds_add_u32 v3, v163
.LBB11_34:                              ;   in Loop: Header=BB11_2 Depth=1
	s_or_b32 exec_lo, exec_lo, s23
	v_cndmask_b32_e64 v163, 0, 1, s35
	v_cndmask_b32_e64 v164, 0, 1, s15
	;; [unrolled: 1-line block ×4, first 2 shown]
	s_delay_alu instid0(VALU_DEP_4) | instskip(SKIP_3) | instid1(VALU_DEP_3)
	v_cmp_ne_u32_e32 vcc_lo, 0, v163
	v_cndmask_b32_e64 v163, 0, 1, s16
	v_cmp_ne_u32_e64 s23, 0, v164
	v_xor_b32_e32 v164, vcc_lo, v154
	v_cmp_ne_u32_e32 vcc_lo, 0, v163
	s_delay_alu instid0(VALU_DEP_3) | instskip(SKIP_1) | instid1(VALU_DEP_4)
	v_xor_b32_e32 v163, s23, v155
	v_cmp_ne_u32_e64 s23, 0, v165
	v_and_b32_e32 v164, exec_lo, v164
	v_xor_b32_e32 v165, vcc_lo, v156
	v_cmp_ne_u32_e32 vcc_lo, 0, v166
	s_delay_alu instid0(VALU_DEP_4) | instskip(NEXT) | instid1(VALU_DEP_4)
	v_xor_b32_e32 v166, s23, v157
	v_and_b32_e32 v163, v164, v163
	v_cndmask_b32_e64 v164, 0, 1, s19
	s_delay_alu instid0(VALU_DEP_2) | instskip(SKIP_1) | instid1(VALU_DEP_3)
	v_and_b32_e32 v163, v163, v165
	v_cndmask_b32_e64 v165, 0, 1, s20
	v_cmp_ne_u32_e64 s23, 0, v164
	v_xor_b32_e32 v164, vcc_lo, v158
	s_delay_alu instid0(VALU_DEP_4) | instskip(SKIP_3) | instid1(VALU_DEP_4)
	v_and_b32_e32 v163, v163, v166
	v_cndmask_b32_e64 v166, 0, 1, s21
	v_cmp_ne_u32_e32 vcc_lo, 0, v165
	v_xor_b32_e32 v165, s23, v159
	v_and_b32_e32 v163, v163, v164
	s_delay_alu instid0(VALU_DEP_4) | instskip(SKIP_1) | instid1(VALU_DEP_3)
	v_cmp_ne_u32_e64 s23, 0, v166
	v_xor_b32_e32 v164, vcc_lo, v160
	v_and_b32_e32 v163, v163, v165
	v_cndmask_b32_e64 v165, 0, 1, s22
	s_delay_alu instid0(VALU_DEP_4) | instskip(SKIP_1) | instid1(VALU_DEP_3)
	v_xor_b32_e32 v166, s23, v161
	s_mov_b32 s23, exec_lo
	v_and_b32_e32 v163, v163, v164
	s_delay_alu instid0(VALU_DEP_3) | instskip(NEXT) | instid1(VALU_DEP_2)
	v_cmp_ne_u32_e32 vcc_lo, 0, v165
	v_and_b32_e32 v163, v163, v166
	v_xor_b32_e32 v164, vcc_lo, v162
	s_delay_alu instid0(VALU_DEP_1) | instskip(NEXT) | instid1(VALU_DEP_1)
	v_and_b32_e32 v163, v163, v164
	v_mbcnt_lo_u32_b32 v164, v163, 0
	s_delay_alu instid0(VALU_DEP_1)
	v_cmpx_eq_u32_e32 0, v164
	s_cbranch_execz .LBB11_1
; %bb.35:                               ;   in Loop: Header=BB11_2 Depth=1
	v_bcnt_u32_b32 v163, v163, 0
	ds_add_u32 v4, v163
	s_branch .LBB11_1
.LBB11_36:
	v_readlane_b32 s1, v168, 4
	s_delay_alu instid0(VALU_DEP_1)
	s_and_saveexec_b32 s0, s1
	s_cbranch_execz .LBB11_38
; %bb.37:
	ds_load_b32 v2, v0
	v_mov_b32_e32 v14, 0
	v_readlane_b32 s0, v168, 0
	v_readlane_b32 s2, v168, 2
	;; [unrolled: 1-line block ×4, first 2 shown]
	v_lshlrev_b64 v[0:1], 2, v[13:14]
	s_delay_alu instid0(VALU_DEP_1) | instskip(NEXT) | instid1(VALU_DEP_2)
	v_add_co_u32 v0, vcc_lo, s2, v0
	v_add_co_ci_u32_e32 v1, vcc_lo, s3, v1, vcc_lo
	s_waitcnt lgkmcnt(0)
	global_store_b32 v[0:1], v2, off
.LBB11_38:
	s_nop 0
	s_sendmsg sendmsg(MSG_DEALLOC_VGPRS)
	s_endpgm
	.section	.rodata,"a",@progbits
	.p2align	6, 0x0
	.amdhsa_kernel _Z6kernelI9histogramILN6hipcub23BlockHistogramAlgorithmE0EEiLj320ELj16ELj320ELj100EEvPKT0_PS4_
		.amdhsa_group_segment_fixed_size 1280
		.amdhsa_private_segment_fixed_size 0
		.amdhsa_kernarg_size 16
		.amdhsa_user_sgpr_count 15
		.amdhsa_user_sgpr_dispatch_ptr 0
		.amdhsa_user_sgpr_queue_ptr 0
		.amdhsa_user_sgpr_kernarg_segment_ptr 1
		.amdhsa_user_sgpr_dispatch_id 0
		.amdhsa_user_sgpr_private_segment_size 0
		.amdhsa_wavefront_size32 1
		.amdhsa_uses_dynamic_stack 0
		.amdhsa_enable_private_segment 0
		.amdhsa_system_sgpr_workgroup_id_x 1
		.amdhsa_system_sgpr_workgroup_id_y 0
		.amdhsa_system_sgpr_workgroup_id_z 0
		.amdhsa_system_sgpr_workgroup_info 0
		.amdhsa_system_vgpr_workitem_id 0
		.amdhsa_next_free_vgpr 169
		.amdhsa_next_free_sgpr 105
		.amdhsa_reserve_vcc 1
		.amdhsa_float_round_mode_32 0
		.amdhsa_float_round_mode_16_64 0
		.amdhsa_float_denorm_mode_32 3
		.amdhsa_float_denorm_mode_16_64 3
		.amdhsa_dx10_clamp 1
		.amdhsa_ieee_mode 1
		.amdhsa_fp16_overflow 0
		.amdhsa_workgroup_processor_mode 1
		.amdhsa_memory_ordered 1
		.amdhsa_forward_progress 0
		.amdhsa_shared_vgpr_count 0
		.amdhsa_exception_fp_ieee_invalid_op 0
		.amdhsa_exception_fp_denorm_src 0
		.amdhsa_exception_fp_ieee_div_zero 0
		.amdhsa_exception_fp_ieee_overflow 0
		.amdhsa_exception_fp_ieee_underflow 0
		.amdhsa_exception_fp_ieee_inexact 0
		.amdhsa_exception_int_div_zero 0
	.end_amdhsa_kernel
	.section	.text._Z6kernelI9histogramILN6hipcub23BlockHistogramAlgorithmE0EEiLj320ELj16ELj320ELj100EEvPKT0_PS4_,"axG",@progbits,_Z6kernelI9histogramILN6hipcub23BlockHistogramAlgorithmE0EEiLj320ELj16ELj320ELj100EEvPKT0_PS4_,comdat
.Lfunc_end11:
	.size	_Z6kernelI9histogramILN6hipcub23BlockHistogramAlgorithmE0EEiLj320ELj16ELj320ELj100EEvPKT0_PS4_, .Lfunc_end11-_Z6kernelI9histogramILN6hipcub23BlockHistogramAlgorithmE0EEiLj320ELj16ELj320ELj100EEvPKT0_PS4_
                                        ; -- End function
	.section	.AMDGPU.csdata,"",@progbits
; Kernel info:
; codeLenInByte = 8328
; NumSgprs: 107
; NumVgprs: 169
; ScratchSize: 0
; MemoryBound: 0
; FloatMode: 240
; IeeeMode: 1
; LDSByteSize: 1280 bytes/workgroup (compile time only)
; SGPRBlocks: 13
; VGPRBlocks: 21
; NumSGPRsForWavesPerEU: 107
; NumVGPRsForWavesPerEU: 169
; Occupancy: 8
; WaveLimiterHint : 0
; COMPUTE_PGM_RSRC2:SCRATCH_EN: 0
; COMPUTE_PGM_RSRC2:USER_SGPR: 15
; COMPUTE_PGM_RSRC2:TRAP_HANDLER: 0
; COMPUTE_PGM_RSRC2:TGID_X_EN: 1
; COMPUTE_PGM_RSRC2:TGID_Y_EN: 0
; COMPUTE_PGM_RSRC2:TGID_Z_EN: 0
; COMPUTE_PGM_RSRC2:TIDIG_COMP_CNT: 0
	.section	.text._Z6kernelI9histogramILN6hipcub23BlockHistogramAlgorithmE0EEiLj512ELj1ELj512ELj100EEvPKT0_PS4_,"axG",@progbits,_Z6kernelI9histogramILN6hipcub23BlockHistogramAlgorithmE0EEiLj512ELj1ELj512ELj100EEvPKT0_PS4_,comdat
	.protected	_Z6kernelI9histogramILN6hipcub23BlockHistogramAlgorithmE0EEiLj512ELj1ELj512ELj100EEvPKT0_PS4_ ; -- Begin function _Z6kernelI9histogramILN6hipcub23BlockHistogramAlgorithmE0EEiLj512ELj1ELj512ELj100EEvPKT0_PS4_
	.globl	_Z6kernelI9histogramILN6hipcub23BlockHistogramAlgorithmE0EEiLj512ELj1ELj512ELj100EEvPKT0_PS4_
	.p2align	8
	.type	_Z6kernelI9histogramILN6hipcub23BlockHistogramAlgorithmE0EEiLj512ELj1ELj512ELj100EEvPKT0_PS4_,@function
_Z6kernelI9histogramILN6hipcub23BlockHistogramAlgorithmE0EEiLj512ELj1ELj512ELj100EEvPKT0_PS4_: ; @_Z6kernelI9histogramILN6hipcub23BlockHistogramAlgorithmE0EEiLj512ELj1ELj512ELj100EEvPKT0_PS4_
; %bb.0:
	s_load_b128 s[0:3], s[0:1], 0x0
	s_lshl_b32 s4, s15, 9
	v_mov_b32_e32 v2, 0
	v_or_b32_e32 v1, s4, v0
	s_movk_i32 s4, 0x64
	s_delay_alu instid0(VALU_DEP_1) | instskip(SKIP_1) | instid1(VALU_DEP_1)
	v_lshlrev_b64 v[3:4], 2, v[1:2]
	s_waitcnt lgkmcnt(0)
	v_add_co_u32 v3, vcc_lo, s0, v3
	s_delay_alu instid0(VALU_DEP_2)
	v_add_co_ci_u32_e32 v4, vcc_lo, s1, v4, vcc_lo
	v_cmp_gt_u32_e32 vcc_lo, 0x200, v0
	v_lshlrev_b32_e32 v0, 2, v0
	global_load_b32 v3, v[3:4], off
	s_waitcnt vmcnt(0)
	v_lshlrev_b32_e32 v7, 29, v3
	v_and_b32_e32 v4, 1, v3
	v_lshlrev_b32_e32 v6, 30, v3
	v_lshlrev_b32_e32 v8, 28, v3
	;; [unrolled: 1-line block ×3, first 2 shown]
	v_not_b32_e32 v14, v7
	v_add_co_u32 v4, s0, v4, -1
	s_delay_alu instid0(VALU_DEP_1)
	v_cndmask_b32_e64 v5, 0, 1, s0
	v_cmp_gt_i32_e64 s0, 0, v6
	v_not_b32_e32 v13, v6
	v_lshlrev_b32_e32 v10, 26, v3
	v_not_b32_e32 v15, v8
	v_lshlrev_b32_e32 v11, 25, v3
	v_cndmask_b32_e64 v6, 0, 1, s0
	v_cmp_gt_i32_e64 s0, 0, v7
	v_not_b32_e32 v16, v9
	v_lshlrev_b32_e32 v12, 24, v3
	v_not_b32_e32 v17, v10
	v_lshlrev_b32_e32 v21, 23, v3
	v_cndmask_b32_e64 v7, 0, 1, s0
	v_cmp_gt_i32_e64 s0, 0, v8
	v_not_b32_e32 v18, v11
	v_not_b32_e32 v19, v12
	;; [unrolled: 1-line block ×3, first 2 shown]
	v_lshlrev_b32_e32 v3, 2, v3
	v_cndmask_b32_e64 v8, 0, 1, s0
	v_cmp_gt_i32_e64 s0, 0, v9
	v_ashrrev_i32_e32 v13, 31, v13
	v_ashrrev_i32_e32 v14, 31, v14
	;; [unrolled: 1-line block ×4, first 2 shown]
	v_cndmask_b32_e64 v9, 0, 1, s0
	v_cmp_gt_i32_e64 s0, 0, v10
	v_ashrrev_i32_e32 v17, 31, v17
	v_ashrrev_i32_e32 v18, 31, v18
	;; [unrolled: 1-line block ×4, first 2 shown]
	v_cndmask_b32_e64 v10, 0, 1, s0
	v_cmp_gt_i32_e64 s0, 0, v11
	s_delay_alu instid0(VALU_DEP_1) | instskip(SKIP_1) | instid1(VALU_DEP_1)
	v_cndmask_b32_e64 v11, 0, 1, s0
	v_cmp_gt_i32_e64 s0, 0, v12
	v_cndmask_b32_e64 v12, 0, 1, s0
	v_cmp_gt_i32_e64 s0, 0, v21
	s_delay_alu instid0(VALU_DEP_1)
	v_cndmask_b32_e64 v21, 0, 1, s0
	s_branch .LBB12_2
.LBB12_1:                               ;   in Loop: Header=BB12_2 Depth=1
	s_or_b32 exec_lo, exec_lo, s1
	s_add_i32 s4, s4, -1
	s_waitcnt lgkmcnt(0)
	s_cmp_eq_u32 s4, 0
	s_barrier
	buffer_gl0_inv
	s_cbranch_scc1 .LBB12_6
.LBB12_2:                               ; =>This Inner Loop Header: Depth=1
	s_and_saveexec_b32 s0, vcc_lo
	s_cbranch_execz .LBB12_4
; %bb.3:                                ;   in Loop: Header=BB12_2 Depth=1
	ds_store_b32 v0, v2
.LBB12_4:                               ;   in Loop: Header=BB12_2 Depth=1
	s_or_b32 exec_lo, exec_lo, s0
	v_cmp_ne_u32_e64 s0, 0, v5
	v_cmp_ne_u32_e64 s1, 0, v6
	s_waitcnt lgkmcnt(0)
	s_barrier
	buffer_gl0_inv
	v_xor_b32_e32 v22, s0, v4
	v_cmp_ne_u32_e64 s0, 0, v7
	v_xor_b32_e32 v23, s1, v13
	v_cmp_ne_u32_e64 s1, 0, v8
	s_delay_alu instid0(VALU_DEP_4) | instskip(NEXT) | instid1(VALU_DEP_4)
	v_and_b32_e32 v22, exec_lo, v22
	v_xor_b32_e32 v24, s0, v14
	v_cmp_ne_u32_e64 s0, 0, v9
	s_delay_alu instid0(VALU_DEP_3) | instskip(SKIP_2) | instid1(VALU_DEP_3)
	v_and_b32_e32 v22, v22, v23
	v_xor_b32_e32 v23, s1, v15
	v_cmp_ne_u32_e64 s1, 0, v10
	v_and_b32_e32 v22, v22, v24
	v_xor_b32_e32 v24, s0, v16
	v_cmp_ne_u32_e64 s0, 0, v11
	s_delay_alu instid0(VALU_DEP_3) | instskip(SKIP_2) | instid1(VALU_DEP_3)
	v_and_b32_e32 v22, v22, v23
	v_xor_b32_e32 v23, s1, v17
	v_cmp_ne_u32_e64 s1, 0, v12
	v_and_b32_e32 v22, v22, v24
	v_xor_b32_e32 v24, s0, v18
	v_cmp_ne_u32_e64 s0, 0, v21
	s_delay_alu instid0(VALU_DEP_3) | instskip(SKIP_2) | instid1(VALU_DEP_2)
	v_and_b32_e32 v22, v22, v23
	v_xor_b32_e32 v23, s1, v19
	s_mov_b32 s1, exec_lo
	v_and_b32_e32 v22, v22, v24
	s_delay_alu instid0(VALU_DEP_1) | instskip(SKIP_1) | instid1(VALU_DEP_1)
	v_and_b32_e32 v22, v22, v23
	v_xor_b32_e32 v23, s0, v20
	v_and_b32_e32 v22, v22, v23
	s_delay_alu instid0(VALU_DEP_1) | instskip(NEXT) | instid1(VALU_DEP_1)
	v_mbcnt_lo_u32_b32 v23, v22, 0
	v_cmpx_eq_u32_e32 0, v23
	s_cbranch_execz .LBB12_1
; %bb.5:                                ;   in Loop: Header=BB12_2 Depth=1
	v_bcnt_u32_b32 v22, v22, 0
	ds_add_u32 v3, v22
	s_branch .LBB12_1
.LBB12_6:
	s_and_saveexec_b32 s0, vcc_lo
	s_cbranch_execz .LBB12_8
; %bb.7:
	ds_load_b32 v3, v0
	v_mov_b32_e32 v2, 0
	s_delay_alu instid0(VALU_DEP_1) | instskip(NEXT) | instid1(VALU_DEP_1)
	v_lshlrev_b64 v[0:1], 2, v[1:2]
	v_add_co_u32 v0, vcc_lo, s2, v0
	s_delay_alu instid0(VALU_DEP_2)
	v_add_co_ci_u32_e32 v1, vcc_lo, s3, v1, vcc_lo
	s_waitcnt lgkmcnt(0)
	global_store_b32 v[0:1], v3, off
.LBB12_8:
	s_nop 0
	s_sendmsg sendmsg(MSG_DEALLOC_VGPRS)
	s_endpgm
	.section	.rodata,"a",@progbits
	.p2align	6, 0x0
	.amdhsa_kernel _Z6kernelI9histogramILN6hipcub23BlockHistogramAlgorithmE0EEiLj512ELj1ELj512ELj100EEvPKT0_PS4_
		.amdhsa_group_segment_fixed_size 2048
		.amdhsa_private_segment_fixed_size 0
		.amdhsa_kernarg_size 16
		.amdhsa_user_sgpr_count 15
		.amdhsa_user_sgpr_dispatch_ptr 0
		.amdhsa_user_sgpr_queue_ptr 0
		.amdhsa_user_sgpr_kernarg_segment_ptr 1
		.amdhsa_user_sgpr_dispatch_id 0
		.amdhsa_user_sgpr_private_segment_size 0
		.amdhsa_wavefront_size32 1
		.amdhsa_uses_dynamic_stack 0
		.amdhsa_enable_private_segment 0
		.amdhsa_system_sgpr_workgroup_id_x 1
		.amdhsa_system_sgpr_workgroup_id_y 0
		.amdhsa_system_sgpr_workgroup_id_z 0
		.amdhsa_system_sgpr_workgroup_info 0
		.amdhsa_system_vgpr_workitem_id 0
		.amdhsa_next_free_vgpr 25
		.amdhsa_next_free_sgpr 16
		.amdhsa_reserve_vcc 1
		.amdhsa_float_round_mode_32 0
		.amdhsa_float_round_mode_16_64 0
		.amdhsa_float_denorm_mode_32 3
		.amdhsa_float_denorm_mode_16_64 3
		.amdhsa_dx10_clamp 1
		.amdhsa_ieee_mode 1
		.amdhsa_fp16_overflow 0
		.amdhsa_workgroup_processor_mode 1
		.amdhsa_memory_ordered 1
		.amdhsa_forward_progress 0
		.amdhsa_shared_vgpr_count 0
		.amdhsa_exception_fp_ieee_invalid_op 0
		.amdhsa_exception_fp_denorm_src 0
		.amdhsa_exception_fp_ieee_div_zero 0
		.amdhsa_exception_fp_ieee_overflow 0
		.amdhsa_exception_fp_ieee_underflow 0
		.amdhsa_exception_fp_ieee_inexact 0
		.amdhsa_exception_int_div_zero 0
	.end_amdhsa_kernel
	.section	.text._Z6kernelI9histogramILN6hipcub23BlockHistogramAlgorithmE0EEiLj512ELj1ELj512ELj100EEvPKT0_PS4_,"axG",@progbits,_Z6kernelI9histogramILN6hipcub23BlockHistogramAlgorithmE0EEiLj512ELj1ELj512ELj100EEvPKT0_PS4_,comdat
.Lfunc_end12:
	.size	_Z6kernelI9histogramILN6hipcub23BlockHistogramAlgorithmE0EEiLj512ELj1ELj512ELj100EEvPKT0_PS4_, .Lfunc_end12-_Z6kernelI9histogramILN6hipcub23BlockHistogramAlgorithmE0EEiLj512ELj1ELj512ELj100EEvPKT0_PS4_
                                        ; -- End function
	.section	.AMDGPU.csdata,"",@progbits
; Kernel info:
; codeLenInByte = 692
; NumSgprs: 18
; NumVgprs: 25
; ScratchSize: 0
; MemoryBound: 0
; FloatMode: 240
; IeeeMode: 1
; LDSByteSize: 2048 bytes/workgroup (compile time only)
; SGPRBlocks: 2
; VGPRBlocks: 3
; NumSGPRsForWavesPerEU: 18
; NumVGPRsForWavesPerEU: 25
; Occupancy: 16
; WaveLimiterHint : 0
; COMPUTE_PGM_RSRC2:SCRATCH_EN: 0
; COMPUTE_PGM_RSRC2:USER_SGPR: 15
; COMPUTE_PGM_RSRC2:TRAP_HANDLER: 0
; COMPUTE_PGM_RSRC2:TGID_X_EN: 1
; COMPUTE_PGM_RSRC2:TGID_Y_EN: 0
; COMPUTE_PGM_RSRC2:TGID_Z_EN: 0
; COMPUTE_PGM_RSRC2:TIDIG_COMP_CNT: 0
	.section	.text._Z6kernelI9histogramILN6hipcub23BlockHistogramAlgorithmE0EEiLj512ELj2ELj512ELj100EEvPKT0_PS4_,"axG",@progbits,_Z6kernelI9histogramILN6hipcub23BlockHistogramAlgorithmE0EEiLj512ELj2ELj512ELj100EEvPKT0_PS4_,comdat
	.protected	_Z6kernelI9histogramILN6hipcub23BlockHistogramAlgorithmE0EEiLj512ELj2ELj512ELj100EEvPKT0_PS4_ ; -- Begin function _Z6kernelI9histogramILN6hipcub23BlockHistogramAlgorithmE0EEiLj512ELj2ELj512ELj100EEvPKT0_PS4_
	.globl	_Z6kernelI9histogramILN6hipcub23BlockHistogramAlgorithmE0EEiLj512ELj2ELj512ELj100EEvPKT0_PS4_
	.p2align	8
	.type	_Z6kernelI9histogramILN6hipcub23BlockHistogramAlgorithmE0EEiLj512ELj2ELj512ELj100EEvPKT0_PS4_,@function
_Z6kernelI9histogramILN6hipcub23BlockHistogramAlgorithmE0EEiLj512ELj2ELj512ELj100EEvPKT0_PS4_: ; @_Z6kernelI9histogramILN6hipcub23BlockHistogramAlgorithmE0EEiLj512ELj2ELj512ELj100EEvPKT0_PS4_
; %bb.0:
	s_load_b128 s[0:3], s[0:1], 0x0
	v_dual_mov_b32 v2, 0 :: v_dual_lshlrev_b32 v1, 1, v0
	s_movk_i32 s4, 0x64
	s_delay_alu instid0(VALU_DEP_1) | instskip(NEXT) | instid1(VALU_DEP_1)
	v_lshl_or_b32 v1, s15, 10, v1
	v_lshlrev_b64 v[3:4], 2, v[1:2]
	v_lshlrev_b32_e32 v1, 2, v0
	s_waitcnt lgkmcnt(0)
	s_delay_alu instid0(VALU_DEP_2) | instskip(NEXT) | instid1(VALU_DEP_3)
	v_add_co_u32 v3, vcc_lo, s0, v3
	v_add_co_ci_u32_e32 v4, vcc_lo, s1, v4, vcc_lo
	v_cmp_gt_u32_e32 vcc_lo, 0x200, v0
	global_load_b64 v[3:4], v[3:4], off
	s_waitcnt vmcnt(0)
	v_and_b32_e32 v5, 1, v3
	v_lshlrev_b32_e32 v7, 30, v3
	v_lshlrev_b32_e32 v8, 29, v3
	v_lshlrev_b32_e32 v9, 28, v3
	v_lshlrev_b32_e32 v10, 27, v3
	v_add_co_u32 v5, s0, v5, -1
	s_delay_alu instid0(VALU_DEP_1)
	v_cndmask_b32_e64 v6, 0, 1, s0
	v_cmp_gt_i32_e64 s0, 0, v7
	v_not_b32_e32 v24, v7
	v_not_b32_e32 v25, v8
	v_lshlrev_b32_e32 v11, 26, v3
	v_not_b32_e32 v26, v9
	v_cndmask_b32_e64 v7, 0, 1, s0
	v_cmp_gt_i32_e64 s0, 0, v8
	v_lshlrev_b32_e32 v12, 25, v3
	v_not_b32_e32 v27, v10
	v_lshlrev_b32_e32 v13, 24, v3
	v_not_b32_e32 v28, v11
	v_cndmask_b32_e64 v8, 0, 1, s0
	v_cmp_gt_i32_e64 s0, 0, v9
	v_lshlrev_b32_e32 v14, 23, v3
	v_not_b32_e32 v29, v12
	v_and_b32_e32 v15, 1, v4
	v_not_b32_e32 v30, v13
	v_cndmask_b32_e64 v9, 0, 1, s0
	v_cmp_gt_i32_e64 s0, 0, v10
	v_lshlrev_b32_e32 v17, 30, v4
	v_not_b32_e32 v31, v14
	v_lshlrev_b32_e32 v18, 29, v4
	v_lshlrev_b32_e32 v19, 28, v4
	v_cndmask_b32_e64 v10, 0, 1, s0
	v_cmp_gt_i32_e64 s0, 0, v11
	v_not_b32_e32 v32, v17
	v_lshlrev_b32_e32 v20, 27, v4
	v_not_b32_e32 v33, v18
	v_lshlrev_b32_e32 v21, 26, v4
	v_cndmask_b32_e64 v11, 0, 1, s0
	v_cmp_gt_i32_e64 s0, 0, v12
	v_not_b32_e32 v34, v19
	v_lshlrev_b32_e32 v22, 25, v4
	v_not_b32_e32 v35, v20
	;; [unrolled: 6-line block ×3, first 2 shown]
	v_not_b32_e32 v38, v23
	v_cndmask_b32_e64 v13, 0, 1, s0
	v_cmp_gt_i32_e64 s0, 0, v14
	v_not_b32_e32 v39, v40
	v_lshlrev_b32_e32 v3, 2, v3
	v_lshlrev_b32_e32 v4, 2, v4
	v_ashrrev_i32_e32 v24, 31, v24
	v_cndmask_b32_e64 v14, 0, 1, s0
	v_add_co_u32 v15, s0, v15, -1
	s_delay_alu instid0(VALU_DEP_1)
	v_cndmask_b32_e64 v16, 0, 1, s0
	v_cmp_gt_i32_e64 s0, 0, v17
	v_ashrrev_i32_e32 v25, 31, v25
	v_ashrrev_i32_e32 v26, 31, v26
	v_ashrrev_i32_e32 v27, 31, v27
	v_ashrrev_i32_e32 v28, 31, v28
	v_cndmask_b32_e64 v17, 0, 1, s0
	v_cmp_gt_i32_e64 s0, 0, v18
	v_ashrrev_i32_e32 v29, 31, v29
	v_ashrrev_i32_e32 v30, 31, v30
	v_ashrrev_i32_e32 v31, 31, v31
	v_ashrrev_i32_e32 v32, 31, v32
	;; [unrolled: 6-line block ×3, first 2 shown]
	v_cndmask_b32_e64 v19, 0, 1, s0
	v_cmp_gt_i32_e64 s0, 0, v20
	v_ashrrev_i32_e32 v37, 31, v37
	v_ashrrev_i32_e32 v38, 31, v38
	;; [unrolled: 1-line block ×3, first 2 shown]
	s_delay_alu instid0(VALU_DEP_4) | instskip(SKIP_1) | instid1(VALU_DEP_1)
	v_cndmask_b32_e64 v20, 0, 1, s0
	v_cmp_gt_i32_e64 s0, 0, v21
	v_cndmask_b32_e64 v21, 0, 1, s0
	v_cmp_gt_i32_e64 s0, 0, v22
	s_delay_alu instid0(VALU_DEP_1) | instskip(SKIP_1) | instid1(VALU_DEP_1)
	v_cndmask_b32_e64 v22, 0, 1, s0
	v_cmp_gt_i32_e64 s0, 0, v23
	v_cndmask_b32_e64 v23, 0, 1, s0
	v_cmp_gt_i32_e64 s0, 0, v40
	s_delay_alu instid0(VALU_DEP_1)
	v_cndmask_b32_e64 v40, 0, 1, s0
	s_branch .LBB13_2
.LBB13_1:                               ;   in Loop: Header=BB13_2 Depth=1
	s_or_b32 exec_lo, exec_lo, s1
	s_add_i32 s4, s4, -1
	s_waitcnt lgkmcnt(0)
	s_cmp_eq_u32 s4, 0
	s_barrier
	buffer_gl0_inv
	s_cbranch_scc1 .LBB13_8
.LBB13_2:                               ; =>This Inner Loop Header: Depth=1
	s_and_saveexec_b32 s0, vcc_lo
	s_cbranch_execz .LBB13_4
; %bb.3:                                ;   in Loop: Header=BB13_2 Depth=1
	ds_store_b32 v1, v2
.LBB13_4:                               ;   in Loop: Header=BB13_2 Depth=1
	s_or_b32 exec_lo, exec_lo, s0
	v_cmp_ne_u32_e64 s0, 0, v6
	v_cmp_ne_u32_e64 s1, 0, v7
	s_waitcnt lgkmcnt(0)
	s_barrier
	buffer_gl0_inv
	v_xor_b32_e32 v41, s0, v5
	v_cmp_ne_u32_e64 s0, 0, v8
	v_xor_b32_e32 v42, s1, v24
	v_cmp_ne_u32_e64 s1, 0, v9
	s_delay_alu instid0(VALU_DEP_4) | instskip(NEXT) | instid1(VALU_DEP_4)
	v_and_b32_e32 v41, exec_lo, v41
	v_xor_b32_e32 v43, s0, v25
	v_cmp_ne_u32_e64 s0, 0, v10
	s_delay_alu instid0(VALU_DEP_3) | instskip(SKIP_2) | instid1(VALU_DEP_3)
	v_and_b32_e32 v41, v41, v42
	v_xor_b32_e32 v42, s1, v26
	v_cmp_ne_u32_e64 s1, 0, v11
	v_and_b32_e32 v41, v41, v43
	v_xor_b32_e32 v43, s0, v27
	v_cmp_ne_u32_e64 s0, 0, v12
	s_delay_alu instid0(VALU_DEP_3) | instskip(SKIP_2) | instid1(VALU_DEP_3)
	v_and_b32_e32 v41, v41, v42
	v_xor_b32_e32 v42, s1, v28
	v_cmp_ne_u32_e64 s1, 0, v13
	v_and_b32_e32 v41, v41, v43
	v_xor_b32_e32 v43, s0, v29
	v_cmp_ne_u32_e64 s0, 0, v14
	s_delay_alu instid0(VALU_DEP_3) | instskip(SKIP_2) | instid1(VALU_DEP_2)
	v_and_b32_e32 v41, v41, v42
	v_xor_b32_e32 v42, s1, v30
	s_mov_b32 s1, exec_lo
	v_and_b32_e32 v41, v41, v43
	s_delay_alu instid0(VALU_DEP_1) | instskip(SKIP_1) | instid1(VALU_DEP_1)
	v_and_b32_e32 v41, v41, v42
	v_xor_b32_e32 v42, s0, v31
	v_and_b32_e32 v41, v41, v42
	s_delay_alu instid0(VALU_DEP_1) | instskip(NEXT) | instid1(VALU_DEP_1)
	v_mbcnt_lo_u32_b32 v42, v41, 0
	v_cmpx_eq_u32_e32 0, v42
	s_cbranch_execz .LBB13_6
; %bb.5:                                ;   in Loop: Header=BB13_2 Depth=1
	v_bcnt_u32_b32 v41, v41, 0
	ds_add_u32 v3, v41
.LBB13_6:                               ;   in Loop: Header=BB13_2 Depth=1
	s_or_b32 exec_lo, exec_lo, s1
	v_cmp_ne_u32_e64 s0, 0, v16
	v_cmp_ne_u32_e64 s1, 0, v17
	s_delay_alu instid0(VALU_DEP_2) | instskip(SKIP_1) | instid1(VALU_DEP_3)
	v_xor_b32_e32 v41, s0, v15
	v_cmp_ne_u32_e64 s0, 0, v18
	v_xor_b32_e32 v42, s1, v32
	v_cmp_ne_u32_e64 s1, 0, v19
	s_delay_alu instid0(VALU_DEP_4) | instskip(NEXT) | instid1(VALU_DEP_4)
	v_and_b32_e32 v41, exec_lo, v41
	v_xor_b32_e32 v43, s0, v33
	v_cmp_ne_u32_e64 s0, 0, v20
	s_delay_alu instid0(VALU_DEP_3) | instskip(SKIP_2) | instid1(VALU_DEP_3)
	v_and_b32_e32 v41, v41, v42
	v_xor_b32_e32 v42, s1, v34
	v_cmp_ne_u32_e64 s1, 0, v21
	v_and_b32_e32 v41, v41, v43
	v_xor_b32_e32 v43, s0, v35
	v_cmp_ne_u32_e64 s0, 0, v22
	s_delay_alu instid0(VALU_DEP_3) | instskip(SKIP_2) | instid1(VALU_DEP_3)
	v_and_b32_e32 v41, v41, v42
	v_xor_b32_e32 v42, s1, v36
	v_cmp_ne_u32_e64 s1, 0, v23
	v_and_b32_e32 v41, v41, v43
	v_xor_b32_e32 v43, s0, v37
	v_cmp_ne_u32_e64 s0, 0, v40
	s_delay_alu instid0(VALU_DEP_3) | instskip(SKIP_2) | instid1(VALU_DEP_2)
	v_and_b32_e32 v41, v41, v42
	v_xor_b32_e32 v42, s1, v38
	s_mov_b32 s1, exec_lo
	v_and_b32_e32 v41, v41, v43
	s_delay_alu instid0(VALU_DEP_1) | instskip(SKIP_1) | instid1(VALU_DEP_1)
	v_and_b32_e32 v41, v41, v42
	v_xor_b32_e32 v42, s0, v39
	v_and_b32_e32 v41, v41, v42
	s_delay_alu instid0(VALU_DEP_1) | instskip(NEXT) | instid1(VALU_DEP_1)
	v_mbcnt_lo_u32_b32 v42, v41, 0
	v_cmpx_eq_u32_e32 0, v42
	s_cbranch_execz .LBB13_1
; %bb.7:                                ;   in Loop: Header=BB13_2 Depth=1
	v_bcnt_u32_b32 v41, v41, 0
	ds_add_u32 v4, v41
	s_branch .LBB13_1
.LBB13_8:
	s_and_saveexec_b32 s0, vcc_lo
	s_cbranch_execz .LBB13_10
; %bb.9:
	ds_load_b32 v2, v1
	v_lshl_or_b32 v0, s15, 9, v0
	v_mov_b32_e32 v1, 0
	s_delay_alu instid0(VALU_DEP_1) | instskip(NEXT) | instid1(VALU_DEP_1)
	v_lshlrev_b64 v[0:1], 2, v[0:1]
	v_add_co_u32 v0, vcc_lo, s2, v0
	s_delay_alu instid0(VALU_DEP_2)
	v_add_co_ci_u32_e32 v1, vcc_lo, s3, v1, vcc_lo
	s_waitcnt lgkmcnt(0)
	global_store_b32 v[0:1], v2, off
.LBB13_10:
	s_nop 0
	s_sendmsg sendmsg(MSG_DEALLOC_VGPRS)
	s_endpgm
	.section	.rodata,"a",@progbits
	.p2align	6, 0x0
	.amdhsa_kernel _Z6kernelI9histogramILN6hipcub23BlockHistogramAlgorithmE0EEiLj512ELj2ELj512ELj100EEvPKT0_PS4_
		.amdhsa_group_segment_fixed_size 2048
		.amdhsa_private_segment_fixed_size 0
		.amdhsa_kernarg_size 16
		.amdhsa_user_sgpr_count 15
		.amdhsa_user_sgpr_dispatch_ptr 0
		.amdhsa_user_sgpr_queue_ptr 0
		.amdhsa_user_sgpr_kernarg_segment_ptr 1
		.amdhsa_user_sgpr_dispatch_id 0
		.amdhsa_user_sgpr_private_segment_size 0
		.amdhsa_wavefront_size32 1
		.amdhsa_uses_dynamic_stack 0
		.amdhsa_enable_private_segment 0
		.amdhsa_system_sgpr_workgroup_id_x 1
		.amdhsa_system_sgpr_workgroup_id_y 0
		.amdhsa_system_sgpr_workgroup_id_z 0
		.amdhsa_system_sgpr_workgroup_info 0
		.amdhsa_system_vgpr_workitem_id 0
		.amdhsa_next_free_vgpr 44
		.amdhsa_next_free_sgpr 16
		.amdhsa_reserve_vcc 1
		.amdhsa_float_round_mode_32 0
		.amdhsa_float_round_mode_16_64 0
		.amdhsa_float_denorm_mode_32 3
		.amdhsa_float_denorm_mode_16_64 3
		.amdhsa_dx10_clamp 1
		.amdhsa_ieee_mode 1
		.amdhsa_fp16_overflow 0
		.amdhsa_workgroup_processor_mode 1
		.amdhsa_memory_ordered 1
		.amdhsa_forward_progress 0
		.amdhsa_shared_vgpr_count 0
		.amdhsa_exception_fp_ieee_invalid_op 0
		.amdhsa_exception_fp_denorm_src 0
		.amdhsa_exception_fp_ieee_div_zero 0
		.amdhsa_exception_fp_ieee_overflow 0
		.amdhsa_exception_fp_ieee_underflow 0
		.amdhsa_exception_fp_ieee_inexact 0
		.amdhsa_exception_int_div_zero 0
	.end_amdhsa_kernel
	.section	.text._Z6kernelI9histogramILN6hipcub23BlockHistogramAlgorithmE0EEiLj512ELj2ELj512ELj100EEvPKT0_PS4_,"axG",@progbits,_Z6kernelI9histogramILN6hipcub23BlockHistogramAlgorithmE0EEiLj512ELj2ELj512ELj100EEvPKT0_PS4_,comdat
.Lfunc_end13:
	.size	_Z6kernelI9histogramILN6hipcub23BlockHistogramAlgorithmE0EEiLj512ELj2ELj512ELj100EEvPKT0_PS4_, .Lfunc_end13-_Z6kernelI9histogramILN6hipcub23BlockHistogramAlgorithmE0EEiLj512ELj2ELj512ELj100EEvPKT0_PS4_
                                        ; -- End function
	.section	.AMDGPU.csdata,"",@progbits
; Kernel info:
; codeLenInByte = 1172
; NumSgprs: 18
; NumVgprs: 44
; ScratchSize: 0
; MemoryBound: 0
; FloatMode: 240
; IeeeMode: 1
; LDSByteSize: 2048 bytes/workgroup (compile time only)
; SGPRBlocks: 2
; VGPRBlocks: 5
; NumSGPRsForWavesPerEU: 18
; NumVGPRsForWavesPerEU: 44
; Occupancy: 16
; WaveLimiterHint : 0
; COMPUTE_PGM_RSRC2:SCRATCH_EN: 0
; COMPUTE_PGM_RSRC2:USER_SGPR: 15
; COMPUTE_PGM_RSRC2:TRAP_HANDLER: 0
; COMPUTE_PGM_RSRC2:TGID_X_EN: 1
; COMPUTE_PGM_RSRC2:TGID_Y_EN: 0
; COMPUTE_PGM_RSRC2:TGID_Z_EN: 0
; COMPUTE_PGM_RSRC2:TIDIG_COMP_CNT: 0
	.section	.text._Z6kernelI9histogramILN6hipcub23BlockHistogramAlgorithmE0EEiLj512ELj3ELj512ELj100EEvPKT0_PS4_,"axG",@progbits,_Z6kernelI9histogramILN6hipcub23BlockHistogramAlgorithmE0EEiLj512ELj3ELj512ELj100EEvPKT0_PS4_,comdat
	.protected	_Z6kernelI9histogramILN6hipcub23BlockHistogramAlgorithmE0EEiLj512ELj3ELj512ELj100EEvPKT0_PS4_ ; -- Begin function _Z6kernelI9histogramILN6hipcub23BlockHistogramAlgorithmE0EEiLj512ELj3ELj512ELj100EEvPKT0_PS4_
	.globl	_Z6kernelI9histogramILN6hipcub23BlockHistogramAlgorithmE0EEiLj512ELj3ELj512ELj100EEvPKT0_PS4_
	.p2align	8
	.type	_Z6kernelI9histogramILN6hipcub23BlockHistogramAlgorithmE0EEiLj512ELj3ELj512ELj100EEvPKT0_PS4_,@function
_Z6kernelI9histogramILN6hipcub23BlockHistogramAlgorithmE0EEiLj512ELj3ELj512ELj100EEvPKT0_PS4_: ; @_Z6kernelI9histogramILN6hipcub23BlockHistogramAlgorithmE0EEiLj512ELj3ELj512ELj100EEvPKT0_PS4_
; %bb.0:
	s_load_b128 s[4:7], s[0:1], 0x0
	s_lshl_b32 s0, s15, 9
	s_movk_i32 s8, 0x64
	v_or_b32_e32 v1, s0, v0
	s_delay_alu instid0(VALU_DEP_1) | instskip(NEXT) | instid1(VALU_DEP_1)
	v_lshl_add_u32 v2, v1, 1, v1
	v_dual_mov_b32 v3, 0 :: v_dual_add_nc_u32 v6, 1, v2
	s_delay_alu instid0(VALU_DEP_1) | instskip(SKIP_1) | instid1(VALU_DEP_1)
	v_lshlrev_b64 v[4:5], 2, v[2:3]
	v_dual_mov_b32 v7, v3 :: v_dual_add_nc_u32 v2, 2, v2
	v_lshlrev_b64 v[6:7], 2, v[6:7]
	s_waitcnt lgkmcnt(0)
	s_delay_alu instid0(VALU_DEP_3) | instskip(NEXT) | instid1(VALU_DEP_4)
	v_add_co_u32 v4, vcc_lo, s4, v4
	v_add_co_ci_u32_e32 v5, vcc_lo, s5, v5, vcc_lo
	global_load_b32 v8, v[4:5], off
	v_add_co_u32 v4, vcc_lo, s4, v6
	v_add_co_ci_u32_e32 v5, vcc_lo, s5, v7, vcc_lo
	v_lshlrev_b64 v[6:7], 2, v[2:3]
	global_load_b32 v9, v[4:5], off
	v_add_co_u32 v4, vcc_lo, s4, v6
	v_add_co_ci_u32_e32 v5, vcc_lo, s5, v7, vcc_lo
	v_cmp_gt_u32_e32 vcc_lo, 0x200, v0
	v_lshlrev_b32_e32 v0, 2, v0
	global_load_b32 v5, v[4:5], off
	s_waitcnt vmcnt(2)
	v_and_b32_e32 v6, 1, v8
	v_lshlrev_b32_e32 v10, 30, v8
	v_lshlrev_b32_e32 v11, 29, v8
	;; [unrolled: 1-line block ×4, first 2 shown]
	v_add_co_u32 v6, s0, v6, -1
	s_delay_alu instid0(VALU_DEP_1)
	v_cndmask_b32_e64 v7, 0, 1, s0
	v_cmp_gt_i32_e64 s0, 0, v10
	v_lshlrev_b32_e32 v14, 26, v8
	v_lshlrev_b32_e32 v15, 25, v8
	;; [unrolled: 1-line block ×5, first 2 shown]
	v_cndmask_b32_e64 v8, 0, 1, s0
	v_cmp_gt_i32_e64 s0, 0, v11
	s_waitcnt vmcnt(1)
	v_and_b32_e32 v18, 1, v9
	v_lshlrev_b32_e32 v19, 30, v9
	v_lshlrev_b32_e32 v20, 29, v9
	;; [unrolled: 1-line block ×9, first 2 shown]
	v_cndmask_b32_e64 v9, 0, 1, s0
	v_cmp_gt_i32_e64 s0, 0, v12
	v_not_b32_e32 v35, v10
	v_not_b32_e32 v36, v11
	v_not_b32_e32 v37, v12
	v_not_b32_e32 v38, v13
	v_cndmask_b32_e64 v10, 0, 1, s0
	v_cmp_gt_i32_e64 s0, 0, v13
	v_not_b32_e32 v41, v16
	v_not_b32_e32 v39, v14
	v_not_b32_e32 v42, v17
	v_not_b32_e32 v43, v19
	;; [unrolled: 6-line block ×3, first 2 shown]
	v_cndmask_b32_e64 v12, 0, 1, s0
	v_cmp_gt_i32_e64 s0, 0, v15
	s_waitcnt vmcnt(0)
	v_and_b32_e32 v27, 1, v5
	v_not_b32_e32 v48, v24
	v_lshlrev_b32_e32 v28, 30, v5
	v_not_b32_e32 v49, v25
	v_cndmask_b32_e64 v13, 0, 1, s0
	v_cmp_gt_i32_e64 s0, 0, v16
	v_add_co_u32 v16, s4, v18, -1
	v_not_b32_e32 v50, v26
	v_lshlrev_b32_e32 v29, 29, v5
	s_delay_alu instid0(VALU_DEP_4)
	v_cndmask_b32_e64 v14, 0, 1, s0
	v_cmp_gt_i32_e64 s0, 0, v17
	v_cndmask_b32_e64 v17, 0, 1, s4
	v_cmp_gt_i32_e64 s4, 0, v19
	v_lshlrev_b32_e32 v30, 28, v5
	v_not_b32_e32 v51, v28
	v_lshlrev_b32_e32 v55, 27, v5
	v_lshlrev_b32_e32 v31, 26, v5
	v_cndmask_b32_e64 v18, 0, 1, s4
	v_cmp_gt_i32_e64 s4, 0, v20
	v_lshlrev_b32_e32 v32, 25, v5
	v_lshlrev_b32_e32 v33, 24, v5
	;; [unrolled: 1-line block ×3, first 2 shown]
	v_not_b32_e32 v52, v29
	v_cndmask_b32_e64 v19, 0, 1, s4
	v_cmp_gt_i32_e64 s4, 0, v21
	v_not_b32_e32 v40, v15
	v_not_b32_e32 v53, v30
	;; [unrolled: 1-line block ×4, first 2 shown]
	v_cndmask_b32_e64 v20, 0, 1, s4
	v_cmp_gt_i32_e64 s4, 0, v22
	v_not_b32_e32 v57, v32
	v_not_b32_e32 v58, v33
	;; [unrolled: 1-line block ×3, first 2 shown]
	v_lshlrev_b32_e32 v5, 2, v5
	v_cndmask_b32_e64 v21, 0, 1, s4
	v_cmp_gt_i32_e64 s4, 0, v23
	v_cndmask_b32_e64 v15, 0, 1, s0
	v_cmp_gt_i32_e64 s0, 0, v31
	v_cmp_gt_i32_e64 s1, 0, v32
	;; [unrolled: 1-line block ×3, first 2 shown]
	v_cndmask_b32_e64 v22, 0, 1, s4
	v_cmp_gt_i32_e64 s4, 0, v24
	v_cmp_gt_i32_e64 s3, 0, v34
	v_ashrrev_i32_e32 v31, 31, v35
	v_ashrrev_i32_e32 v32, 31, v36
	;; [unrolled: 1-line block ×3, first 2 shown]
	v_cndmask_b32_e64 v23, 0, 1, s4
	v_cmp_gt_i32_e64 s4, 0, v25
	v_ashrrev_i32_e32 v34, 31, v38
	v_ashrrev_i32_e32 v35, 31, v39
	;; [unrolled: 1-line block ×4, first 2 shown]
	v_cndmask_b32_e64 v24, 0, 1, s4
	v_cmp_gt_i32_e64 s4, 0, v26
	v_ashrrev_i32_e32 v38, 31, v42
	v_ashrrev_i32_e32 v39, 31, v43
	;; [unrolled: 1-line block ×4, first 2 shown]
	v_cndmask_b32_e64 v25, 0, 1, s4
	v_add_co_u32 v26, s4, v27, -1
	s_delay_alu instid0(VALU_DEP_1)
	v_cndmask_b32_e64 v27, 0, 1, s4
	v_cmp_gt_i32_e64 s4, 0, v28
	v_ashrrev_i32_e32 v42, 31, v46
	v_ashrrev_i32_e32 v43, 31, v47
	v_ashrrev_i32_e32 v44, 31, v48
	v_ashrrev_i32_e32 v45, 31, v49
	v_cndmask_b32_e64 v28, 0, 1, s4
	v_cmp_gt_i32_e64 s4, 0, v29
	v_ashrrev_i32_e32 v46, 31, v50
	v_ashrrev_i32_e32 v47, 31, v51
	v_ashrrev_i32_e32 v48, 31, v52
	v_ashrrev_i32_e32 v49, 31, v53
	;; [unrolled: 6-line block ×3, first 2 shown]
	v_cndmask_b32_e64 v30, 0, 1, s4
	v_cmp_gt_i32_e64 s4, 0, v55
	v_ashrrev_i32_e32 v54, 31, v59
	s_delay_alu instid0(VALU_DEP_2)
	v_cndmask_b32_e64 v55, 0, 1, s4
	s_branch .LBB14_2
.LBB14_1:                               ;   in Loop: Header=BB14_2 Depth=1
	s_or_b32 exec_lo, exec_lo, s5
	s_add_i32 s8, s8, -1
	s_waitcnt lgkmcnt(0)
	s_cmp_eq_u32 s8, 0
	s_barrier
	buffer_gl0_inv
	s_cbranch_scc1 .LBB14_10
.LBB14_2:                               ; =>This Inner Loop Header: Depth=1
	s_and_saveexec_b32 s4, vcc_lo
	s_cbranch_execz .LBB14_4
; %bb.3:                                ;   in Loop: Header=BB14_2 Depth=1
	ds_store_b32 v0, v3
.LBB14_4:                               ;   in Loop: Header=BB14_2 Depth=1
	s_or_b32 exec_lo, exec_lo, s4
	v_cmp_ne_u32_e64 s4, 0, v7
	v_cmp_ne_u32_e64 s5, 0, v8
	s_waitcnt lgkmcnt(0)
	s_barrier
	buffer_gl0_inv
	v_xor_b32_e32 v56, s4, v6
	v_cmp_ne_u32_e64 s4, 0, v9
	v_xor_b32_e32 v57, s5, v31
	v_cmp_ne_u32_e64 s5, 0, v10
	s_delay_alu instid0(VALU_DEP_4) | instskip(NEXT) | instid1(VALU_DEP_4)
	v_and_b32_e32 v56, exec_lo, v56
	v_xor_b32_e32 v58, s4, v32
	v_cmp_ne_u32_e64 s4, 0, v11
	s_delay_alu instid0(VALU_DEP_3) | instskip(SKIP_2) | instid1(VALU_DEP_3)
	v_and_b32_e32 v56, v56, v57
	v_xor_b32_e32 v57, s5, v33
	v_cmp_ne_u32_e64 s5, 0, v12
	v_and_b32_e32 v56, v56, v58
	v_xor_b32_e32 v58, s4, v34
	v_cmp_ne_u32_e64 s4, 0, v13
	s_delay_alu instid0(VALU_DEP_3) | instskip(SKIP_2) | instid1(VALU_DEP_3)
	v_and_b32_e32 v56, v56, v57
	v_xor_b32_e32 v57, s5, v35
	v_cmp_ne_u32_e64 s5, 0, v14
	v_and_b32_e32 v56, v56, v58
	v_xor_b32_e32 v58, s4, v36
	v_cmp_ne_u32_e64 s4, 0, v15
	s_delay_alu instid0(VALU_DEP_3) | instskip(SKIP_2) | instid1(VALU_DEP_2)
	v_and_b32_e32 v56, v56, v57
	v_xor_b32_e32 v57, s5, v37
	s_mov_b32 s5, exec_lo
	v_and_b32_e32 v56, v56, v58
	s_delay_alu instid0(VALU_DEP_1) | instskip(SKIP_1) | instid1(VALU_DEP_1)
	v_and_b32_e32 v56, v56, v57
	v_xor_b32_e32 v57, s4, v38
	v_and_b32_e32 v56, v56, v57
	s_delay_alu instid0(VALU_DEP_1) | instskip(NEXT) | instid1(VALU_DEP_1)
	v_mbcnt_lo_u32_b32 v57, v56, 0
	v_cmpx_eq_u32_e32 0, v57
	s_cbranch_execz .LBB14_6
; %bb.5:                                ;   in Loop: Header=BB14_2 Depth=1
	v_bcnt_u32_b32 v56, v56, 0
	ds_add_u32 v2, v56
.LBB14_6:                               ;   in Loop: Header=BB14_2 Depth=1
	s_or_b32 exec_lo, exec_lo, s5
	v_cmp_ne_u32_e64 s4, 0, v17
	v_cmp_ne_u32_e64 s5, 0, v18
	s_delay_alu instid0(VALU_DEP_2) | instskip(SKIP_1) | instid1(VALU_DEP_3)
	v_xor_b32_e32 v56, s4, v16
	v_cmp_ne_u32_e64 s4, 0, v19
	v_xor_b32_e32 v57, s5, v39
	v_cmp_ne_u32_e64 s5, 0, v20
	s_delay_alu instid0(VALU_DEP_4) | instskip(NEXT) | instid1(VALU_DEP_4)
	v_and_b32_e32 v56, exec_lo, v56
	v_xor_b32_e32 v58, s4, v40
	v_cmp_ne_u32_e64 s4, 0, v21
	s_delay_alu instid0(VALU_DEP_3) | instskip(SKIP_2) | instid1(VALU_DEP_3)
	v_and_b32_e32 v56, v56, v57
	v_xor_b32_e32 v57, s5, v41
	v_cmp_ne_u32_e64 s5, 0, v22
	v_and_b32_e32 v56, v56, v58
	v_xor_b32_e32 v58, s4, v42
	v_cmp_ne_u32_e64 s4, 0, v23
	s_delay_alu instid0(VALU_DEP_3) | instskip(SKIP_2) | instid1(VALU_DEP_3)
	v_and_b32_e32 v56, v56, v57
	v_xor_b32_e32 v57, s5, v43
	v_cmp_ne_u32_e64 s5, 0, v24
	v_and_b32_e32 v56, v56, v58
	v_xor_b32_e32 v58, s4, v44
	v_cmp_ne_u32_e64 s4, 0, v25
	s_delay_alu instid0(VALU_DEP_3) | instskip(SKIP_2) | instid1(VALU_DEP_2)
	v_and_b32_e32 v56, v56, v57
	v_xor_b32_e32 v57, s5, v45
	s_mov_b32 s5, exec_lo
	v_and_b32_e32 v56, v56, v58
	s_delay_alu instid0(VALU_DEP_1) | instskip(SKIP_1) | instid1(VALU_DEP_1)
	v_and_b32_e32 v56, v56, v57
	v_xor_b32_e32 v57, s4, v46
	v_and_b32_e32 v56, v56, v57
	s_delay_alu instid0(VALU_DEP_1) | instskip(NEXT) | instid1(VALU_DEP_1)
	v_mbcnt_lo_u32_b32 v57, v56, 0
	v_cmpx_eq_u32_e32 0, v57
	s_cbranch_execz .LBB14_8
; %bb.7:                                ;   in Loop: Header=BB14_2 Depth=1
	v_bcnt_u32_b32 v56, v56, 0
	ds_add_u32 v4, v56
.LBB14_8:                               ;   in Loop: Header=BB14_2 Depth=1
	s_or_b32 exec_lo, exec_lo, s5
	v_cmp_ne_u32_e64 s4, 0, v27
	v_cmp_ne_u32_e64 s5, 0, v28
	s_delay_alu instid0(VALU_DEP_2) | instskip(SKIP_1) | instid1(VALU_DEP_3)
	v_xor_b32_e32 v56, s4, v26
	v_cmp_ne_u32_e64 s4, 0, v29
	v_xor_b32_e32 v57, s5, v47
	v_cmp_ne_u32_e64 s5, 0, v30
	s_delay_alu instid0(VALU_DEP_4) | instskip(NEXT) | instid1(VALU_DEP_4)
	v_and_b32_e32 v56, exec_lo, v56
	v_xor_b32_e32 v58, s4, v48
	v_cmp_ne_u32_e64 s4, 0, v55
	s_delay_alu instid0(VALU_DEP_4) | instskip(NEXT) | instid1(VALU_DEP_4)
	v_xor_b32_e32 v59, s5, v49
	v_and_b32_e32 v56, v56, v57
	v_cndmask_b32_e64 v57, 0, 1, s0
	s_delay_alu instid0(VALU_DEP_4) | instskip(NEXT) | instid1(VALU_DEP_3)
	v_xor_b32_e32 v60, s4, v50
	v_and_b32_e32 v56, v56, v58
	v_cndmask_b32_e64 v58, 0, 1, s1
	s_delay_alu instid0(VALU_DEP_4) | instskip(SKIP_1) | instid1(VALU_DEP_4)
	v_cmp_ne_u32_e64 s4, 0, v57
	v_cndmask_b32_e64 v57, 0, 1, s2
	v_and_b32_e32 v56, v56, v59
	s_delay_alu instid0(VALU_DEP_4) | instskip(NEXT) | instid1(VALU_DEP_4)
	v_cmp_ne_u32_e64 s5, 0, v58
	v_xor_b32_e32 v58, s4, v51
	s_delay_alu instid0(VALU_DEP_4) | instskip(NEXT) | instid1(VALU_DEP_4)
	v_cmp_ne_u32_e64 s4, 0, v57
	v_and_b32_e32 v56, v56, v60
	s_delay_alu instid0(VALU_DEP_4) | instskip(SKIP_1) | instid1(VALU_DEP_3)
	v_xor_b32_e32 v57, s5, v52
	s_mov_b32 s5, exec_lo
	v_xor_b32_e32 v59, s4, v53
	s_delay_alu instid0(VALU_DEP_3) | instskip(SKIP_1) | instid1(VALU_DEP_2)
	v_and_b32_e32 v56, v56, v58
	v_cndmask_b32_e64 v58, 0, 1, s3
	v_and_b32_e32 v56, v56, v57
	s_delay_alu instid0(VALU_DEP_2) | instskip(NEXT) | instid1(VALU_DEP_2)
	v_cmp_ne_u32_e64 s4, 0, v58
	v_and_b32_e32 v56, v56, v59
	s_delay_alu instid0(VALU_DEP_2) | instskip(NEXT) | instid1(VALU_DEP_1)
	v_xor_b32_e32 v57, s4, v54
	v_and_b32_e32 v56, v56, v57
	s_delay_alu instid0(VALU_DEP_1) | instskip(NEXT) | instid1(VALU_DEP_1)
	v_mbcnt_lo_u32_b32 v57, v56, 0
	v_cmpx_eq_u32_e32 0, v57
	s_cbranch_execz .LBB14_1
; %bb.9:                                ;   in Loop: Header=BB14_2 Depth=1
	v_bcnt_u32_b32 v56, v56, 0
	ds_add_u32 v5, v56
	s_branch .LBB14_1
.LBB14_10:
	s_and_saveexec_b32 s0, vcc_lo
	s_cbranch_execz .LBB14_12
; %bb.11:
	ds_load_b32 v3, v0
	v_mov_b32_e32 v2, 0
	s_delay_alu instid0(VALU_DEP_1) | instskip(NEXT) | instid1(VALU_DEP_1)
	v_lshlrev_b64 v[0:1], 2, v[1:2]
	v_add_co_u32 v0, vcc_lo, s6, v0
	s_delay_alu instid0(VALU_DEP_2)
	v_add_co_ci_u32_e32 v1, vcc_lo, s7, v1, vcc_lo
	s_waitcnt lgkmcnt(0)
	global_store_b32 v[0:1], v3, off
.LBB14_12:
	s_nop 0
	s_sendmsg sendmsg(MSG_DEALLOC_VGPRS)
	s_endpgm
	.section	.rodata,"a",@progbits
	.p2align	6, 0x0
	.amdhsa_kernel _Z6kernelI9histogramILN6hipcub23BlockHistogramAlgorithmE0EEiLj512ELj3ELj512ELj100EEvPKT0_PS4_
		.amdhsa_group_segment_fixed_size 2048
		.amdhsa_private_segment_fixed_size 0
		.amdhsa_kernarg_size 16
		.amdhsa_user_sgpr_count 15
		.amdhsa_user_sgpr_dispatch_ptr 0
		.amdhsa_user_sgpr_queue_ptr 0
		.amdhsa_user_sgpr_kernarg_segment_ptr 1
		.amdhsa_user_sgpr_dispatch_id 0
		.amdhsa_user_sgpr_private_segment_size 0
		.amdhsa_wavefront_size32 1
		.amdhsa_uses_dynamic_stack 0
		.amdhsa_enable_private_segment 0
		.amdhsa_system_sgpr_workgroup_id_x 1
		.amdhsa_system_sgpr_workgroup_id_y 0
		.amdhsa_system_sgpr_workgroup_id_z 0
		.amdhsa_system_sgpr_workgroup_info 0
		.amdhsa_system_vgpr_workitem_id 0
		.amdhsa_next_free_vgpr 61
		.amdhsa_next_free_sgpr 16
		.amdhsa_reserve_vcc 1
		.amdhsa_float_round_mode_32 0
		.amdhsa_float_round_mode_16_64 0
		.amdhsa_float_denorm_mode_32 3
		.amdhsa_float_denorm_mode_16_64 3
		.amdhsa_dx10_clamp 1
		.amdhsa_ieee_mode 1
		.amdhsa_fp16_overflow 0
		.amdhsa_workgroup_processor_mode 1
		.amdhsa_memory_ordered 1
		.amdhsa_forward_progress 0
		.amdhsa_shared_vgpr_count 0
		.amdhsa_exception_fp_ieee_invalid_op 0
		.amdhsa_exception_fp_denorm_src 0
		.amdhsa_exception_fp_ieee_div_zero 0
		.amdhsa_exception_fp_ieee_overflow 0
		.amdhsa_exception_fp_ieee_underflow 0
		.amdhsa_exception_fp_ieee_inexact 0
		.amdhsa_exception_int_div_zero 0
	.end_amdhsa_kernel
	.section	.text._Z6kernelI9histogramILN6hipcub23BlockHistogramAlgorithmE0EEiLj512ELj3ELj512ELj100EEvPKT0_PS4_,"axG",@progbits,_Z6kernelI9histogramILN6hipcub23BlockHistogramAlgorithmE0EEiLj512ELj3ELj512ELj100EEvPKT0_PS4_,comdat
.Lfunc_end14:
	.size	_Z6kernelI9histogramILN6hipcub23BlockHistogramAlgorithmE0EEiLj512ELj3ELj512ELj100EEvPKT0_PS4_, .Lfunc_end14-_Z6kernelI9histogramILN6hipcub23BlockHistogramAlgorithmE0EEiLj512ELj3ELj512ELj100EEvPKT0_PS4_
                                        ; -- End function
	.section	.AMDGPU.csdata,"",@progbits
; Kernel info:
; codeLenInByte = 1724
; NumSgprs: 18
; NumVgprs: 61
; ScratchSize: 0
; MemoryBound: 0
; FloatMode: 240
; IeeeMode: 1
; LDSByteSize: 2048 bytes/workgroup (compile time only)
; SGPRBlocks: 2
; VGPRBlocks: 7
; NumSGPRsForWavesPerEU: 18
; NumVGPRsForWavesPerEU: 61
; Occupancy: 16
; WaveLimiterHint : 0
; COMPUTE_PGM_RSRC2:SCRATCH_EN: 0
; COMPUTE_PGM_RSRC2:USER_SGPR: 15
; COMPUTE_PGM_RSRC2:TRAP_HANDLER: 0
; COMPUTE_PGM_RSRC2:TGID_X_EN: 1
; COMPUTE_PGM_RSRC2:TGID_Y_EN: 0
; COMPUTE_PGM_RSRC2:TGID_Z_EN: 0
; COMPUTE_PGM_RSRC2:TIDIG_COMP_CNT: 0
	.section	.text._Z6kernelI9histogramILN6hipcub23BlockHistogramAlgorithmE0EEiLj512ELj4ELj512ELj100EEvPKT0_PS4_,"axG",@progbits,_Z6kernelI9histogramILN6hipcub23BlockHistogramAlgorithmE0EEiLj512ELj4ELj512ELj100EEvPKT0_PS4_,comdat
	.protected	_Z6kernelI9histogramILN6hipcub23BlockHistogramAlgorithmE0EEiLj512ELj4ELj512ELj100EEvPKT0_PS4_ ; -- Begin function _Z6kernelI9histogramILN6hipcub23BlockHistogramAlgorithmE0EEiLj512ELj4ELj512ELj100EEvPKT0_PS4_
	.globl	_Z6kernelI9histogramILN6hipcub23BlockHistogramAlgorithmE0EEiLj512ELj4ELj512ELj100EEvPKT0_PS4_
	.p2align	8
	.type	_Z6kernelI9histogramILN6hipcub23BlockHistogramAlgorithmE0EEiLj512ELj4ELj512ELj100EEvPKT0_PS4_,@function
_Z6kernelI9histogramILN6hipcub23BlockHistogramAlgorithmE0EEiLj512ELj4ELj512ELj100EEvPKT0_PS4_: ; @_Z6kernelI9histogramILN6hipcub23BlockHistogramAlgorithmE0EEiLj512ELj4ELj512ELj100EEvPKT0_PS4_
; %bb.0:
	s_load_b128 s[24:27], s[0:1], 0x0
	v_dual_mov_b32 v2, 0 :: v_dual_lshlrev_b32 v3, 2, v0
	s_movk_i32 s28, 0x64
	s_delay_alu instid0(VALU_DEP_1) | instskip(NEXT) | instid1(VALU_DEP_1)
	v_lshl_or_b32 v1, s15, 11, v3
	v_lshlrev_b64 v[4:5], 2, v[1:2]
	s_waitcnt lgkmcnt(0)
	s_delay_alu instid0(VALU_DEP_1) | instskip(NEXT) | instid1(VALU_DEP_2)
	v_add_co_u32 v4, vcc_lo, s24, v4
	v_add_co_ci_u32_e32 v5, vcc_lo, s25, v5, vcc_lo
	v_cmp_gt_u32_e32 vcc_lo, 0x200, v0
	global_load_b128 v[4:7], v[4:5], off
	s_waitcnt vmcnt(0)
	v_and_b32_e32 v9, 1, v4
	v_lshlrev_b32_e32 v11, 30, v4
	v_lshlrev_b32_e32 v10, 26, v5
	;; [unrolled: 1-line block ×4, first 2 shown]
	v_add_co_u32 v9, s22, v9, -1
	s_delay_alu instid0(VALU_DEP_4)
	v_cmp_gt_i32_e64 s1, 0, v10
	v_not_b32_e32 v56, v10
	v_cndmask_b32_e64 v10, 0, 1, s22
	v_cmp_gt_i32_e64 s22, 0, v11
	v_not_b32_e32 v43, v11
	v_lshlrev_b32_e32 v14, 27, v4
	v_not_b32_e32 v44, v12
	v_lshlrev_b32_e32 v15, 26, v4
	v_cndmask_b32_e64 v11, 0, 1, s22
	v_cmp_gt_i32_e64 s22, 0, v12
	v_not_b32_e32 v45, v13
	v_lshlrev_b32_e32 v16, 25, v4
	v_not_b32_e32 v46, v14
	v_lshlrev_b32_e32 v17, 24, v4
	v_cndmask_b32_e64 v12, 0, 1, s22
	v_cmp_gt_i32_e64 s22, 0, v13
	v_not_b32_e32 v47, v15
	v_lshlrev_b32_e32 v18, 23, v4
	v_not_b32_e32 v48, v16
	v_and_b32_e32 v19, 1, v5
	v_cndmask_b32_e64 v13, 0, 1, s22
	v_cmp_gt_i32_e64 s22, 0, v14
	v_not_b32_e32 v49, v17
	v_lshlrev_b32_e32 v21, 30, v5
	v_lshlrev_b32_e32 v20, 25, v5
	v_not_b32_e32 v50, v18
	v_cndmask_b32_e64 v14, 0, 1, s22
	v_cmp_gt_i32_e64 s22, 0, v15
	v_lshlrev_b32_e32 v22, 29, v5
	v_cmp_gt_i32_e64 s2, 0, v20
	v_not_b32_e32 v57, v20
	v_lshlrev_b32_e32 v55, 28, v5
	v_cndmask_b32_e64 v15, 0, 1, s22
	v_cmp_gt_i32_e64 s22, 0, v16
	v_lshlrev_b32_e32 v8, 27, v5
	v_lshlrev_b32_e32 v23, 24, v5
	v_lshlrev_b32_e32 v24, 23, v5
	v_lshlrev_b32_e32 v26, 30, v6
	v_cndmask_b32_e64 v16, 0, 1, s22
	v_cmp_gt_i32_e64 s22, 0, v17
	v_lshlrev_b32_e32 v27, 29, v6
	v_lshlrev_b32_e32 v28, 28, v6
	v_lshlrev_b32_e32 v29, 27, v6
	;; [unrolled: 6-line block ×3, first 2 shown]
	v_lshlrev_b32_e32 v35, 30, v7
	v_cndmask_b32_e64 v18, 0, 1, s22
	v_add_co_u32 v19, s22, v19, -1
	s_delay_alu instid0(VALU_DEP_1)
	v_cndmask_b32_e64 v20, 0, 1, s22
	v_cmp_gt_i32_e64 s22, 0, v21
	v_lshlrev_b32_e32 v36, 29, v7
	v_lshlrev_b32_e32 v37, 28, v7
	;; [unrolled: 1-line block ×7, first 2 shown]
	v_not_b32_e32 v51, v21
	v_cndmask_b32_e64 v21, 0, 1, s22
	v_cmp_gt_i32_e64 s22, 0, v22
	v_and_b32_e32 v25, 1, v6
	v_and_b32_e32 v34, 1, v7
	v_not_b32_e32 v52, v22
	v_not_b32_e32 v53, v55
	;; [unrolled: 1-line block ×21, first 2 shown]
	v_cndmask_b32_e64 v22, 0, 1, s22
	v_cmp_gt_i32_e64 s22, 0, v55
	v_lshlrev_b32_e32 v1, 2, v4
	v_lshlrev_b32_e32 v4, 2, v5
	;; [unrolled: 1-line block ×4, first 2 shown]
	v_cmp_gt_i32_e64 s0, 0, v8
	v_cmp_gt_i32_e64 s3, 0, v23
	;; [unrolled: 1-line block ×3, first 2 shown]
	v_add_co_u32 v7, s24, v25, -1
	v_cmp_gt_i32_e64 s5, 0, v26
	v_cmp_gt_i32_e64 s6, 0, v27
	;; [unrolled: 1-line block ×8, first 2 shown]
	v_add_co_u32 v8, s25, v34, -1
	v_cmp_gt_i32_e64 s13, 0, v35
	v_cmp_gt_i32_e64 s14, 0, v36
	;; [unrolled: 1-line block ×8, first 2 shown]
	v_ashrrev_i32_e32 v23, 31, v43
	v_ashrrev_i32_e32 v24, 31, v44
	;; [unrolled: 1-line block ×32, first 2 shown]
	v_cndmask_b32_e64 v55, 0, 1, s22
	s_branch .LBB15_2
.LBB15_1:                               ;   in Loop: Header=BB15_2 Depth=1
	s_or_b32 exec_lo, exec_lo, s23
	s_add_i32 s28, s28, -1
	s_waitcnt lgkmcnt(0)
	s_cmp_eq_u32 s28, 0
	s_barrier
	buffer_gl0_inv
	s_cbranch_scc1 .LBB15_12
.LBB15_2:                               ; =>This Inner Loop Header: Depth=1
	s_and_saveexec_b32 s22, vcc_lo
	s_cbranch_execz .LBB15_4
; %bb.3:                                ;   in Loop: Header=BB15_2 Depth=1
	ds_store_b32 v3, v2
.LBB15_4:                               ;   in Loop: Header=BB15_2 Depth=1
	s_or_b32 exec_lo, exec_lo, s22
	v_cmp_ne_u32_e64 s22, 0, v10
	v_cmp_ne_u32_e64 s23, 0, v11
	s_waitcnt lgkmcnt(0)
	s_barrier
	buffer_gl0_inv
	v_xor_b32_e32 v56, s22, v9
	v_cmp_ne_u32_e64 s22, 0, v12
	v_xor_b32_e32 v57, s23, v23
	v_cmp_ne_u32_e64 s23, 0, v13
	s_delay_alu instid0(VALU_DEP_4) | instskip(NEXT) | instid1(VALU_DEP_4)
	v_and_b32_e32 v56, exec_lo, v56
	v_xor_b32_e32 v58, s22, v24
	v_cmp_ne_u32_e64 s22, 0, v14
	s_delay_alu instid0(VALU_DEP_3) | instskip(SKIP_2) | instid1(VALU_DEP_3)
	v_and_b32_e32 v56, v56, v57
	v_xor_b32_e32 v57, s23, v25
	v_cmp_ne_u32_e64 s23, 0, v15
	v_and_b32_e32 v56, v56, v58
	v_xor_b32_e32 v58, s22, v26
	v_cmp_ne_u32_e64 s22, 0, v16
	s_delay_alu instid0(VALU_DEP_3) | instskip(SKIP_2) | instid1(VALU_DEP_3)
	v_and_b32_e32 v56, v56, v57
	v_xor_b32_e32 v57, s23, v27
	v_cmp_ne_u32_e64 s23, 0, v17
	v_and_b32_e32 v56, v56, v58
	v_xor_b32_e32 v58, s22, v28
	v_cmp_ne_u32_e64 s22, 0, v18
	s_delay_alu instid0(VALU_DEP_3) | instskip(SKIP_2) | instid1(VALU_DEP_2)
	v_and_b32_e32 v56, v56, v57
	v_xor_b32_e32 v57, s23, v29
	s_mov_b32 s23, exec_lo
	v_and_b32_e32 v56, v56, v58
	s_delay_alu instid0(VALU_DEP_1) | instskip(SKIP_1) | instid1(VALU_DEP_1)
	v_and_b32_e32 v56, v56, v57
	v_xor_b32_e32 v57, s22, v30
	v_and_b32_e32 v56, v56, v57
	s_delay_alu instid0(VALU_DEP_1) | instskip(NEXT) | instid1(VALU_DEP_1)
	v_mbcnt_lo_u32_b32 v57, v56, 0
	v_cmpx_eq_u32_e32 0, v57
	s_cbranch_execz .LBB15_6
; %bb.5:                                ;   in Loop: Header=BB15_2 Depth=1
	v_bcnt_u32_b32 v56, v56, 0
	ds_add_u32 v1, v56
.LBB15_6:                               ;   in Loop: Header=BB15_2 Depth=1
	s_or_b32 exec_lo, exec_lo, s23
	v_cmp_ne_u32_e64 s22, 0, v20
	v_cmp_ne_u32_e64 s23, 0, v21
	v_cndmask_b32_e64 v58, 0, 1, s0
	s_delay_alu instid0(VALU_DEP_3) | instskip(SKIP_1) | instid1(VALU_DEP_4)
	v_xor_b32_e32 v56, s22, v19
	v_cmp_ne_u32_e64 s22, 0, v22
	v_xor_b32_e32 v57, s23, v31
	v_cmp_ne_u32_e64 s23, 0, v55
	s_delay_alu instid0(VALU_DEP_4) | instskip(NEXT) | instid1(VALU_DEP_4)
	v_and_b32_e32 v56, exec_lo, v56
	v_xor_b32_e32 v59, s22, v32
	v_cmp_ne_u32_e64 s22, 0, v58
	s_delay_alu instid0(VALU_DEP_4) | instskip(SKIP_3) | instid1(VALU_DEP_2)
	v_xor_b32_e32 v60, s23, v33
	v_cndmask_b32_e64 v58, 0, 1, s2
	v_and_b32_e32 v56, v56, v57
	v_cndmask_b32_e64 v57, 0, 1, s1
	v_and_b32_e32 v56, v56, v59
	s_delay_alu instid0(VALU_DEP_2)
	v_cmp_ne_u32_e64 s23, 0, v57
	v_xor_b32_e32 v57, s22, v34
	v_cndmask_b32_e64 v59, 0, 1, s3
	v_cmp_ne_u32_e64 s22, 0, v58
	v_and_b32_e32 v56, v56, v60
	v_xor_b32_e32 v58, s23, v35
	s_delay_alu instid0(VALU_DEP_4) | instskip(NEXT) | instid1(VALU_DEP_3)
	v_cmp_ne_u32_e64 s23, 0, v59
	v_and_b32_e32 v56, v56, v57
	v_xor_b32_e32 v57, s22, v36
	s_delay_alu instid0(VALU_DEP_3) | instskip(SKIP_1) | instid1(VALU_DEP_3)
	v_xor_b32_e32 v59, s23, v37
	s_mov_b32 s23, exec_lo
	v_and_b32_e32 v56, v56, v58
	v_cndmask_b32_e64 v58, 0, 1, s4
	s_delay_alu instid0(VALU_DEP_2) | instskip(NEXT) | instid1(VALU_DEP_2)
	v_and_b32_e32 v56, v56, v57
	v_cmp_ne_u32_e64 s22, 0, v58
	s_delay_alu instid0(VALU_DEP_2) | instskip(NEXT) | instid1(VALU_DEP_2)
	v_and_b32_e32 v56, v56, v59
	v_xor_b32_e32 v57, s22, v38
	s_delay_alu instid0(VALU_DEP_1) | instskip(NEXT) | instid1(VALU_DEP_1)
	v_and_b32_e32 v56, v56, v57
	v_mbcnt_lo_u32_b32 v57, v56, 0
	s_delay_alu instid0(VALU_DEP_1)
	v_cmpx_eq_u32_e32 0, v57
	s_cbranch_execz .LBB15_8
; %bb.7:                                ;   in Loop: Header=BB15_2 Depth=1
	v_bcnt_u32_b32 v56, v56, 0
	ds_add_u32 v4, v56
.LBB15_8:                               ;   in Loop: Header=BB15_2 Depth=1
	s_or_b32 exec_lo, exec_lo, s23
	v_cndmask_b32_e64 v56, 0, 1, s24
	v_cndmask_b32_e64 v57, 0, 1, s5
	;; [unrolled: 1-line block ×4, first 2 shown]
	s_delay_alu instid0(VALU_DEP_4) | instskip(SKIP_2) | instid1(VALU_DEP_3)
	v_cmp_ne_u32_e64 s22, 0, v56
	v_cndmask_b32_e64 v56, 0, 1, s6
	v_cmp_ne_u32_e64 s23, 0, v57
	v_xor_b32_e32 v57, s22, v7
	s_delay_alu instid0(VALU_DEP_3) | instskip(NEXT) | instid1(VALU_DEP_3)
	v_cmp_ne_u32_e64 s22, 0, v56
	v_xor_b32_e32 v56, s23, v39
	v_cmp_ne_u32_e64 s23, 0, v58
	s_delay_alu instid0(VALU_DEP_4) | instskip(NEXT) | instid1(VALU_DEP_4)
	v_and_b32_e32 v57, exec_lo, v57
	v_xor_b32_e32 v58, s22, v40
	v_cmp_ne_u32_e64 s22, 0, v59
	s_delay_alu instid0(VALU_DEP_4) | instskip(NEXT) | instid1(VALU_DEP_4)
	v_xor_b32_e32 v59, s23, v41
	v_and_b32_e32 v56, v57, v56
	v_cndmask_b32_e64 v57, 0, 1, s9
	s_delay_alu instid0(VALU_DEP_2) | instskip(SKIP_1) | instid1(VALU_DEP_3)
	v_and_b32_e32 v56, v56, v58
	v_cndmask_b32_e64 v58, 0, 1, s10
	v_cmp_ne_u32_e64 s23, 0, v57
	v_xor_b32_e32 v57, s22, v42
	s_delay_alu instid0(VALU_DEP_4) | instskip(SKIP_3) | instid1(VALU_DEP_4)
	v_and_b32_e32 v56, v56, v59
	v_cndmask_b32_e64 v59, 0, 1, s11
	v_cmp_ne_u32_e64 s22, 0, v58
	v_xor_b32_e32 v58, s23, v43
	v_and_b32_e32 v56, v56, v57
	s_delay_alu instid0(VALU_DEP_4) | instskip(NEXT) | instid1(VALU_DEP_4)
	v_cmp_ne_u32_e64 s23, 0, v59
	v_xor_b32_e32 v57, s22, v44
	s_delay_alu instid0(VALU_DEP_3) | instskip(SKIP_1) | instid1(VALU_DEP_4)
	v_and_b32_e32 v56, v56, v58
	v_cndmask_b32_e64 v58, 0, 1, s12
	v_xor_b32_e32 v59, s23, v45
	s_mov_b32 s23, exec_lo
	s_delay_alu instid0(VALU_DEP_3) | instskip(NEXT) | instid1(VALU_DEP_3)
	v_and_b32_e32 v56, v56, v57
	v_cmp_ne_u32_e64 s22, 0, v58
	s_delay_alu instid0(VALU_DEP_2) | instskip(NEXT) | instid1(VALU_DEP_2)
	v_and_b32_e32 v56, v56, v59
	v_xor_b32_e32 v57, s22, v46
	s_delay_alu instid0(VALU_DEP_1) | instskip(NEXT) | instid1(VALU_DEP_1)
	v_and_b32_e32 v56, v56, v57
	v_mbcnt_lo_u32_b32 v57, v56, 0
	s_delay_alu instid0(VALU_DEP_1)
	v_cmpx_eq_u32_e32 0, v57
	s_cbranch_execz .LBB15_10
; %bb.9:                                ;   in Loop: Header=BB15_2 Depth=1
	v_bcnt_u32_b32 v56, v56, 0
	ds_add_u32 v5, v56
.LBB15_10:                              ;   in Loop: Header=BB15_2 Depth=1
	s_or_b32 exec_lo, exec_lo, s23
	v_cndmask_b32_e64 v56, 0, 1, s25
	v_cndmask_b32_e64 v57, 0, 1, s13
	;; [unrolled: 1-line block ×4, first 2 shown]
	s_delay_alu instid0(VALU_DEP_4) | instskip(SKIP_2) | instid1(VALU_DEP_3)
	v_cmp_ne_u32_e64 s22, 0, v56
	v_cndmask_b32_e64 v56, 0, 1, s14
	v_cmp_ne_u32_e64 s23, 0, v57
	v_xor_b32_e32 v57, s22, v8
	s_delay_alu instid0(VALU_DEP_3) | instskip(NEXT) | instid1(VALU_DEP_3)
	v_cmp_ne_u32_e64 s22, 0, v56
	v_xor_b32_e32 v56, s23, v47
	v_cmp_ne_u32_e64 s23, 0, v58
	s_delay_alu instid0(VALU_DEP_4) | instskip(NEXT) | instid1(VALU_DEP_4)
	v_and_b32_e32 v57, exec_lo, v57
	v_xor_b32_e32 v58, s22, v48
	v_cmp_ne_u32_e64 s22, 0, v59
	s_delay_alu instid0(VALU_DEP_4) | instskip(NEXT) | instid1(VALU_DEP_4)
	v_xor_b32_e32 v59, s23, v49
	v_and_b32_e32 v56, v57, v56
	v_cndmask_b32_e64 v57, 0, 1, s18
	s_delay_alu instid0(VALU_DEP_2) | instskip(SKIP_1) | instid1(VALU_DEP_3)
	v_and_b32_e32 v56, v56, v58
	v_cndmask_b32_e64 v58, 0, 1, s19
	v_cmp_ne_u32_e64 s23, 0, v57
	v_xor_b32_e32 v57, s22, v50
	s_delay_alu instid0(VALU_DEP_4) | instskip(SKIP_3) | instid1(VALU_DEP_4)
	v_and_b32_e32 v56, v56, v59
	v_cndmask_b32_e64 v59, 0, 1, s20
	v_cmp_ne_u32_e64 s22, 0, v58
	v_xor_b32_e32 v58, s23, v51
	v_and_b32_e32 v56, v56, v57
	s_delay_alu instid0(VALU_DEP_4) | instskip(NEXT) | instid1(VALU_DEP_4)
	v_cmp_ne_u32_e64 s23, 0, v59
	v_xor_b32_e32 v57, s22, v52
	s_delay_alu instid0(VALU_DEP_3) | instskip(SKIP_1) | instid1(VALU_DEP_4)
	v_and_b32_e32 v56, v56, v58
	v_cndmask_b32_e64 v58, 0, 1, s21
	v_xor_b32_e32 v59, s23, v53
	s_mov_b32 s23, exec_lo
	s_delay_alu instid0(VALU_DEP_3) | instskip(NEXT) | instid1(VALU_DEP_3)
	v_and_b32_e32 v56, v56, v57
	v_cmp_ne_u32_e64 s22, 0, v58
	s_delay_alu instid0(VALU_DEP_2) | instskip(NEXT) | instid1(VALU_DEP_2)
	v_and_b32_e32 v56, v56, v59
	v_xor_b32_e32 v57, s22, v54
	s_delay_alu instid0(VALU_DEP_1) | instskip(NEXT) | instid1(VALU_DEP_1)
	v_and_b32_e32 v56, v56, v57
	v_mbcnt_lo_u32_b32 v57, v56, 0
	s_delay_alu instid0(VALU_DEP_1)
	v_cmpx_eq_u32_e32 0, v57
	s_cbranch_execz .LBB15_1
; %bb.11:                               ;   in Loop: Header=BB15_2 Depth=1
	v_bcnt_u32_b32 v56, v56, 0
	ds_add_u32 v6, v56
	s_branch .LBB15_1
.LBB15_12:
	s_and_saveexec_b32 s0, vcc_lo
	s_cbranch_execz .LBB15_14
; %bb.13:
	ds_load_b32 v2, v3
	v_lshl_or_b32 v0, s15, 9, v0
	v_mov_b32_e32 v1, 0
	s_delay_alu instid0(VALU_DEP_1) | instskip(NEXT) | instid1(VALU_DEP_1)
	v_lshlrev_b64 v[0:1], 2, v[0:1]
	v_add_co_u32 v0, vcc_lo, s26, v0
	s_delay_alu instid0(VALU_DEP_2)
	v_add_co_ci_u32_e32 v1, vcc_lo, s27, v1, vcc_lo
	s_waitcnt lgkmcnt(0)
	global_store_b32 v[0:1], v2, off
.LBB15_14:
	s_nop 0
	s_sendmsg sendmsg(MSG_DEALLOC_VGPRS)
	s_endpgm
	.section	.rodata,"a",@progbits
	.p2align	6, 0x0
	.amdhsa_kernel _Z6kernelI9histogramILN6hipcub23BlockHistogramAlgorithmE0EEiLj512ELj4ELj512ELj100EEvPKT0_PS4_
		.amdhsa_group_segment_fixed_size 2048
		.amdhsa_private_segment_fixed_size 0
		.amdhsa_kernarg_size 16
		.amdhsa_user_sgpr_count 15
		.amdhsa_user_sgpr_dispatch_ptr 0
		.amdhsa_user_sgpr_queue_ptr 0
		.amdhsa_user_sgpr_kernarg_segment_ptr 1
		.amdhsa_user_sgpr_dispatch_id 0
		.amdhsa_user_sgpr_private_segment_size 0
		.amdhsa_wavefront_size32 1
		.amdhsa_uses_dynamic_stack 0
		.amdhsa_enable_private_segment 0
		.amdhsa_system_sgpr_workgroup_id_x 1
		.amdhsa_system_sgpr_workgroup_id_y 0
		.amdhsa_system_sgpr_workgroup_id_z 0
		.amdhsa_system_sgpr_workgroup_info 0
		.amdhsa_system_vgpr_workitem_id 0
		.amdhsa_next_free_vgpr 76
		.amdhsa_next_free_sgpr 29
		.amdhsa_reserve_vcc 1
		.amdhsa_float_round_mode_32 0
		.amdhsa_float_round_mode_16_64 0
		.amdhsa_float_denorm_mode_32 3
		.amdhsa_float_denorm_mode_16_64 3
		.amdhsa_dx10_clamp 1
		.amdhsa_ieee_mode 1
		.amdhsa_fp16_overflow 0
		.amdhsa_workgroup_processor_mode 1
		.amdhsa_memory_ordered 1
		.amdhsa_forward_progress 0
		.amdhsa_shared_vgpr_count 0
		.amdhsa_exception_fp_ieee_invalid_op 0
		.amdhsa_exception_fp_denorm_src 0
		.amdhsa_exception_fp_ieee_div_zero 0
		.amdhsa_exception_fp_ieee_overflow 0
		.amdhsa_exception_fp_ieee_underflow 0
		.amdhsa_exception_fp_ieee_inexact 0
		.amdhsa_exception_int_div_zero 0
	.end_amdhsa_kernel
	.section	.text._Z6kernelI9histogramILN6hipcub23BlockHistogramAlgorithmE0EEiLj512ELj4ELj512ELj100EEvPKT0_PS4_,"axG",@progbits,_Z6kernelI9histogramILN6hipcub23BlockHistogramAlgorithmE0EEiLj512ELj4ELj512ELj100EEvPKT0_PS4_,comdat
.Lfunc_end15:
	.size	_Z6kernelI9histogramILN6hipcub23BlockHistogramAlgorithmE0EEiLj512ELj4ELj512ELj100EEvPKT0_PS4_, .Lfunc_end15-_Z6kernelI9histogramILN6hipcub23BlockHistogramAlgorithmE0EEiLj512ELj4ELj512ELj100EEvPKT0_PS4_
                                        ; -- End function
	.section	.AMDGPU.csdata,"",@progbits
; Kernel info:
; codeLenInByte = 2128
; NumSgprs: 31
; NumVgprs: 76
; ScratchSize: 0
; MemoryBound: 0
; FloatMode: 240
; IeeeMode: 1
; LDSByteSize: 2048 bytes/workgroup (compile time only)
; SGPRBlocks: 3
; VGPRBlocks: 9
; NumSGPRsForWavesPerEU: 31
; NumVGPRsForWavesPerEU: 76
; Occupancy: 16
; WaveLimiterHint : 0
; COMPUTE_PGM_RSRC2:SCRATCH_EN: 0
; COMPUTE_PGM_RSRC2:USER_SGPR: 15
; COMPUTE_PGM_RSRC2:TRAP_HANDLER: 0
; COMPUTE_PGM_RSRC2:TGID_X_EN: 1
; COMPUTE_PGM_RSRC2:TGID_Y_EN: 0
; COMPUTE_PGM_RSRC2:TGID_Z_EN: 0
; COMPUTE_PGM_RSRC2:TIDIG_COMP_CNT: 0
	.section	.text._Z6kernelI9histogramILN6hipcub23BlockHistogramAlgorithmE0EEiLj512ELj8ELj512ELj100EEvPKT0_PS4_,"axG",@progbits,_Z6kernelI9histogramILN6hipcub23BlockHistogramAlgorithmE0EEiLj512ELj8ELj512ELj100EEvPKT0_PS4_,comdat
	.protected	_Z6kernelI9histogramILN6hipcub23BlockHistogramAlgorithmE0EEiLj512ELj8ELj512ELj100EEvPKT0_PS4_ ; -- Begin function _Z6kernelI9histogramILN6hipcub23BlockHistogramAlgorithmE0EEiLj512ELj8ELj512ELj100EEvPKT0_PS4_
	.globl	_Z6kernelI9histogramILN6hipcub23BlockHistogramAlgorithmE0EEiLj512ELj8ELj512ELj100EEvPKT0_PS4_
	.p2align	8
	.type	_Z6kernelI9histogramILN6hipcub23BlockHistogramAlgorithmE0EEiLj512ELj8ELj512ELj100EEvPKT0_PS4_,@function
_Z6kernelI9histogramILN6hipcub23BlockHistogramAlgorithmE0EEiLj512ELj8ELj512ELj100EEvPKT0_PS4_: ; @_Z6kernelI9histogramILN6hipcub23BlockHistogramAlgorithmE0EEiLj512ELj8ELj512ELj100EEvPKT0_PS4_
; %bb.0:
	s_load_b128 s[68:71], s[0:1], 0x0
	v_lshlrev_b32_e32 v1, 3, v0
	v_dual_mov_b32 v5, 0 :: v_dual_lshlrev_b32 v6, 2, v0
	s_movk_i32 s78, 0x64
	s_delay_alu instid0(VALU_DEP_2) | instskip(NEXT) | instid1(VALU_DEP_1)
	v_lshl_or_b32 v4, s15, 12, v1
	v_lshlrev_b64 v[1:2], 2, v[4:5]
	s_waitcnt lgkmcnt(0)
	s_delay_alu instid0(VALU_DEP_1) | instskip(NEXT) | instid1(VALU_DEP_2)
	v_add_co_u32 v1, vcc_lo, s68, v1
	v_add_co_ci_u32_e32 v2, vcc_lo, s69, v2, vcc_lo
	v_cmp_gt_u32_e32 vcc_lo, 0x200, v0
	s_clause 0x1
	global_load_b128 v[7:10], v[1:2], off
	global_load_b128 v[1:4], v[1:2], off offset:16
	s_waitcnt vmcnt(1)
	v_lshlrev_b32_e32 v12, 30, v7
	v_lshlrev_b32_e32 v13, 29, v7
	;; [unrolled: 1-line block ×32, first 2 shown]
	s_waitcnt vmcnt(0)
	v_lshlrev_b32_e32 v48, 30, v1
	v_lshlrev_b32_e32 v49, 29, v1
	;; [unrolled: 1-line block ×32, first 2 shown]
	v_and_b32_e32 v11, 1, v7
	v_and_b32_e32 v20, 1, v8
	;; [unrolled: 1-line block ×8, first 2 shown]
	v_not_b32_e32 v83, v12
	v_not_b32_e32 v84, v13
	v_not_b32_e32 v85, v14
	v_not_b32_e32 v86, v15
	v_not_b32_e32 v87, v16
	v_not_b32_e32 v88, v17
	v_not_b32_e32 v89, v18
	v_not_b32_e32 v90, v19
	v_not_b32_e32 v91, v21
	v_not_b32_e32 v92, v22
	v_not_b32_e32 v93, v23
	v_not_b32_e32 v94, v24
	v_not_b32_e32 v95, v25
	v_not_b32_e32 v96, v26
	v_not_b32_e32 v97, v27
	v_not_b32_e32 v98, v28
	v_not_b32_e32 v99, v30
	v_not_b32_e32 v100, v31
	v_not_b32_e32 v101, v32
	v_not_b32_e32 v102, v33
	v_not_b32_e32 v103, v34
	v_not_b32_e32 v104, v35
	v_not_b32_e32 v105, v36
	v_not_b32_e32 v106, v37
	v_not_b32_e32 v107, v39
	v_not_b32_e32 v108, v40
	v_not_b32_e32 v109, v41
	v_not_b32_e32 v110, v42
	v_not_b32_e32 v111, v43
	v_not_b32_e32 v112, v44
	v_not_b32_e32 v113, v45
	v_not_b32_e32 v114, v46
	v_not_b32_e32 v115, v48
	v_not_b32_e32 v116, v49
	v_not_b32_e32 v117, v50
	v_not_b32_e32 v118, v51
	v_not_b32_e32 v119, v52
	v_not_b32_e32 v120, v53
	v_not_b32_e32 v121, v54
	v_not_b32_e32 v122, v55
	v_not_b32_e32 v123, v57
	v_not_b32_e32 v124, v58
	v_not_b32_e32 v125, v59
	v_not_b32_e32 v126, v60
	v_not_b32_e32 v127, v61
	v_not_b32_e32 v128, v62
	v_not_b32_e32 v129, v63
	v_not_b32_e32 v130, v64
	v_not_b32_e32 v131, v66
	v_not_b32_e32 v132, v67
	v_not_b32_e32 v133, v68
	v_not_b32_e32 v134, v69
	v_not_b32_e32 v135, v70
	v_not_b32_e32 v136, v71
	v_not_b32_e32 v137, v72
	v_not_b32_e32 v138, v73
	v_cmp_gt_i32_e64 s58, 0, v75
	v_not_b32_e32 v75, v75
	v_cmp_gt_i32_e64 s59, 0, v76
	v_not_b32_e32 v76, v76
	;; [unrolled: 2-line block ×8, first 2 shown]
	v_lshlrev_b32_e32 v7, 2, v7
	v_lshlrev_b32_e32 v8, 2, v8
	;; [unrolled: 1-line block ×7, first 2 shown]
	v_add_co_u32 v11, s68, v11, -1
	v_cmp_gt_i32_e64 s0, 0, v12
	v_cmp_gt_i32_e64 s1, 0, v13
	v_cmp_gt_i32_e64 s2, 0, v14
	v_cmp_gt_i32_e64 s3, 0, v15
	v_cmp_gt_i32_e64 s4, 0, v16
	v_cmp_gt_i32_e64 s5, 0, v17
	v_cmp_gt_i32_e64 s6, 0, v18
	v_cmp_gt_i32_e64 s7, 0, v19
	v_add_co_u32 v12, s69, v20, -1
	v_cmp_gt_i32_e64 s8, 0, v21
	v_cmp_gt_i32_e64 s9, 0, v22
	v_cmp_gt_i32_e64 s10, 0, v23
	v_cmp_gt_i32_e64 s11, 0, v24
	v_cmp_gt_i32_e64 s12, 0, v25
	v_cmp_gt_i32_e64 s13, 0, v26
	v_cmp_gt_i32_e64 s14, 0, v27
	v_cmp_gt_i32_e64 s16, 0, v28
	;; [unrolled: 9-line block ×7, first 2 shown]
	v_add_co_u32 v18, s77, v74, -1
	v_ashrrev_i32_e32 v19, 31, v83
	v_ashrrev_i32_e32 v20, 31, v84
	;; [unrolled: 1-line block ×64, first 2 shown]
	v_lshlrev_b32_e32 v4, 2, v4
	s_branch .LBB16_2
.LBB16_1:                               ;   in Loop: Header=BB16_2 Depth=1
	s_or_b32 exec_lo, exec_lo, s67
	s_add_i32 s78, s78, -1
	s_waitcnt lgkmcnt(0)
	s_cmp_eq_u32 s78, 0
	s_barrier
	buffer_gl0_inv
	s_cbranch_scc1 .LBB16_20
.LBB16_2:                               ; =>This Inner Loop Header: Depth=1
	s_and_saveexec_b32 s66, vcc_lo
	s_cbranch_execz .LBB16_4
; %bb.3:                                ;   in Loop: Header=BB16_2 Depth=1
	ds_store_b32 v6, v5
.LBB16_4:                               ;   in Loop: Header=BB16_2 Depth=1
	s_or_b32 exec_lo, exec_lo, s66
	v_cndmask_b32_e64 v83, 0, 1, s68
	v_cndmask_b32_e64 v84, 0, 1, s0
	;; [unrolled: 1-line block ×4, first 2 shown]
	s_waitcnt lgkmcnt(0)
	v_cmp_ne_u32_e64 s66, 0, v83
	v_cndmask_b32_e64 v83, 0, 1, s1
	v_cmp_ne_u32_e64 s67, 0, v84
	s_barrier
	buffer_gl0_inv
	v_xor_b32_e32 v84, s66, v11
	v_cmp_ne_u32_e64 s66, 0, v83
	v_xor_b32_e32 v83, s67, v19
	v_cmp_ne_u32_e64 s67, 0, v85
	s_delay_alu instid0(VALU_DEP_4) | instskip(NEXT) | instid1(VALU_DEP_4)
	v_and_b32_e32 v84, exec_lo, v84
	v_xor_b32_e32 v85, s66, v20
	v_cmp_ne_u32_e64 s66, 0, v86
	s_delay_alu instid0(VALU_DEP_4) | instskip(NEXT) | instid1(VALU_DEP_4)
	v_xor_b32_e32 v86, s67, v21
	v_and_b32_e32 v83, v84, v83
	v_cndmask_b32_e64 v84, 0, 1, s4
	s_delay_alu instid0(VALU_DEP_2) | instskip(SKIP_1) | instid1(VALU_DEP_3)
	v_and_b32_e32 v83, v83, v85
	v_cndmask_b32_e64 v85, 0, 1, s5
	v_cmp_ne_u32_e64 s67, 0, v84
	v_xor_b32_e32 v84, s66, v22
	s_delay_alu instid0(VALU_DEP_4) | instskip(SKIP_3) | instid1(VALU_DEP_4)
	v_and_b32_e32 v83, v83, v86
	v_cndmask_b32_e64 v86, 0, 1, s6
	v_cmp_ne_u32_e64 s66, 0, v85
	v_xor_b32_e32 v85, s67, v23
	v_and_b32_e32 v83, v83, v84
	s_delay_alu instid0(VALU_DEP_4) | instskip(NEXT) | instid1(VALU_DEP_4)
	v_cmp_ne_u32_e64 s67, 0, v86
	v_xor_b32_e32 v84, s66, v24
	s_delay_alu instid0(VALU_DEP_3) | instskip(SKIP_1) | instid1(VALU_DEP_4)
	v_and_b32_e32 v83, v83, v85
	v_cndmask_b32_e64 v85, 0, 1, s7
	v_xor_b32_e32 v86, s67, v25
	s_mov_b32 s67, exec_lo
	s_delay_alu instid0(VALU_DEP_3) | instskip(NEXT) | instid1(VALU_DEP_3)
	v_and_b32_e32 v83, v83, v84
	v_cmp_ne_u32_e64 s66, 0, v85
	s_delay_alu instid0(VALU_DEP_2) | instskip(NEXT) | instid1(VALU_DEP_2)
	v_and_b32_e32 v83, v83, v86
	v_xor_b32_e32 v84, s66, v26
	s_delay_alu instid0(VALU_DEP_1) | instskip(NEXT) | instid1(VALU_DEP_1)
	v_and_b32_e32 v83, v83, v84
	v_mbcnt_lo_u32_b32 v84, v83, 0
	s_delay_alu instid0(VALU_DEP_1)
	v_cmpx_eq_u32_e32 0, v84
	s_cbranch_execz .LBB16_6
; %bb.5:                                ;   in Loop: Header=BB16_2 Depth=1
	v_bcnt_u32_b32 v83, v83, 0
	ds_add_u32 v7, v83
.LBB16_6:                               ;   in Loop: Header=BB16_2 Depth=1
	s_or_b32 exec_lo, exec_lo, s67
	v_cndmask_b32_e64 v83, 0, 1, s69
	v_cndmask_b32_e64 v84, 0, 1, s8
	;; [unrolled: 1-line block ×4, first 2 shown]
	s_delay_alu instid0(VALU_DEP_4) | instskip(SKIP_2) | instid1(VALU_DEP_3)
	v_cmp_ne_u32_e64 s66, 0, v83
	v_cndmask_b32_e64 v83, 0, 1, s9
	v_cmp_ne_u32_e64 s67, 0, v84
	v_xor_b32_e32 v84, s66, v12
	s_delay_alu instid0(VALU_DEP_3) | instskip(NEXT) | instid1(VALU_DEP_3)
	v_cmp_ne_u32_e64 s66, 0, v83
	v_xor_b32_e32 v83, s67, v27
	v_cmp_ne_u32_e64 s67, 0, v85
	s_delay_alu instid0(VALU_DEP_4) | instskip(NEXT) | instid1(VALU_DEP_4)
	v_and_b32_e32 v84, exec_lo, v84
	v_xor_b32_e32 v85, s66, v28
	v_cmp_ne_u32_e64 s66, 0, v86
	s_delay_alu instid0(VALU_DEP_4) | instskip(NEXT) | instid1(VALU_DEP_4)
	v_xor_b32_e32 v86, s67, v29
	v_and_b32_e32 v83, v84, v83
	v_cndmask_b32_e64 v84, 0, 1, s12
	s_delay_alu instid0(VALU_DEP_2) | instskip(SKIP_1) | instid1(VALU_DEP_3)
	v_and_b32_e32 v83, v83, v85
	v_cndmask_b32_e64 v85, 0, 1, s13
	v_cmp_ne_u32_e64 s67, 0, v84
	v_xor_b32_e32 v84, s66, v30
	s_delay_alu instid0(VALU_DEP_4) | instskip(SKIP_3) | instid1(VALU_DEP_4)
	v_and_b32_e32 v83, v83, v86
	v_cndmask_b32_e64 v86, 0, 1, s14
	v_cmp_ne_u32_e64 s66, 0, v85
	v_xor_b32_e32 v85, s67, v31
	v_and_b32_e32 v83, v83, v84
	s_delay_alu instid0(VALU_DEP_4) | instskip(NEXT) | instid1(VALU_DEP_4)
	v_cmp_ne_u32_e64 s67, 0, v86
	v_xor_b32_e32 v84, s66, v32
	s_delay_alu instid0(VALU_DEP_3) | instskip(SKIP_1) | instid1(VALU_DEP_4)
	v_and_b32_e32 v83, v83, v85
	v_cndmask_b32_e64 v85, 0, 1, s16
	v_xor_b32_e32 v86, s67, v33
	s_mov_b32 s67, exec_lo
	s_delay_alu instid0(VALU_DEP_3) | instskip(NEXT) | instid1(VALU_DEP_3)
	v_and_b32_e32 v83, v83, v84
	v_cmp_ne_u32_e64 s66, 0, v85
	s_delay_alu instid0(VALU_DEP_2) | instskip(NEXT) | instid1(VALU_DEP_2)
	v_and_b32_e32 v83, v83, v86
	v_xor_b32_e32 v84, s66, v34
	s_delay_alu instid0(VALU_DEP_1) | instskip(NEXT) | instid1(VALU_DEP_1)
	v_and_b32_e32 v83, v83, v84
	v_mbcnt_lo_u32_b32 v84, v83, 0
	s_delay_alu instid0(VALU_DEP_1)
	v_cmpx_eq_u32_e32 0, v84
	s_cbranch_execz .LBB16_8
; %bb.7:                                ;   in Loop: Header=BB16_2 Depth=1
	v_bcnt_u32_b32 v83, v83, 0
	ds_add_u32 v8, v83
.LBB16_8:                               ;   in Loop: Header=BB16_2 Depth=1
	s_or_b32 exec_lo, exec_lo, s67
	v_cndmask_b32_e64 v83, 0, 1, s72
	v_cndmask_b32_e64 v84, 0, 1, s17
	;; [unrolled: 1-line block ×4, first 2 shown]
	s_delay_alu instid0(VALU_DEP_4) | instskip(SKIP_2) | instid1(VALU_DEP_3)
	v_cmp_ne_u32_e64 s66, 0, v83
	v_cndmask_b32_e64 v83, 0, 1, s18
	v_cmp_ne_u32_e64 s67, 0, v84
	v_xor_b32_e32 v84, s66, v13
	s_delay_alu instid0(VALU_DEP_3) | instskip(NEXT) | instid1(VALU_DEP_3)
	v_cmp_ne_u32_e64 s66, 0, v83
	v_xor_b32_e32 v83, s67, v35
	v_cmp_ne_u32_e64 s67, 0, v85
	s_delay_alu instid0(VALU_DEP_4) | instskip(NEXT) | instid1(VALU_DEP_4)
	v_and_b32_e32 v84, exec_lo, v84
	v_xor_b32_e32 v85, s66, v36
	v_cmp_ne_u32_e64 s66, 0, v86
	s_delay_alu instid0(VALU_DEP_4) | instskip(NEXT) | instid1(VALU_DEP_4)
	v_xor_b32_e32 v86, s67, v37
	v_and_b32_e32 v83, v84, v83
	v_cndmask_b32_e64 v84, 0, 1, s21
	s_delay_alu instid0(VALU_DEP_2) | instskip(SKIP_1) | instid1(VALU_DEP_3)
	v_and_b32_e32 v83, v83, v85
	v_cndmask_b32_e64 v85, 0, 1, s22
	v_cmp_ne_u32_e64 s67, 0, v84
	v_xor_b32_e32 v84, s66, v38
	s_delay_alu instid0(VALU_DEP_4) | instskip(SKIP_3) | instid1(VALU_DEP_4)
	v_and_b32_e32 v83, v83, v86
	v_cndmask_b32_e64 v86, 0, 1, s23
	v_cmp_ne_u32_e64 s66, 0, v85
	v_xor_b32_e32 v85, s67, v39
	v_and_b32_e32 v83, v83, v84
	s_delay_alu instid0(VALU_DEP_4) | instskip(NEXT) | instid1(VALU_DEP_4)
	v_cmp_ne_u32_e64 s67, 0, v86
	v_xor_b32_e32 v84, s66, v40
	s_delay_alu instid0(VALU_DEP_3) | instskip(SKIP_1) | instid1(VALU_DEP_4)
	v_and_b32_e32 v83, v83, v85
	v_cndmask_b32_e64 v85, 0, 1, s24
	v_xor_b32_e32 v86, s67, v41
	s_mov_b32 s67, exec_lo
	s_delay_alu instid0(VALU_DEP_3) | instskip(NEXT) | instid1(VALU_DEP_3)
	v_and_b32_e32 v83, v83, v84
	v_cmp_ne_u32_e64 s66, 0, v85
	s_delay_alu instid0(VALU_DEP_2) | instskip(NEXT) | instid1(VALU_DEP_2)
	v_and_b32_e32 v83, v83, v86
	v_xor_b32_e32 v84, s66, v42
	s_delay_alu instid0(VALU_DEP_1) | instskip(NEXT) | instid1(VALU_DEP_1)
	v_and_b32_e32 v83, v83, v84
	v_mbcnt_lo_u32_b32 v84, v83, 0
	s_delay_alu instid0(VALU_DEP_1)
	v_cmpx_eq_u32_e32 0, v84
	s_cbranch_execz .LBB16_10
; %bb.9:                                ;   in Loop: Header=BB16_2 Depth=1
	v_bcnt_u32_b32 v83, v83, 0
	ds_add_u32 v9, v83
.LBB16_10:                              ;   in Loop: Header=BB16_2 Depth=1
	s_or_b32 exec_lo, exec_lo, s67
	v_cndmask_b32_e64 v83, 0, 1, s73
	v_cndmask_b32_e64 v84, 0, 1, s25
	v_cndmask_b32_e64 v85, 0, 1, s27
	v_cndmask_b32_e64 v86, 0, 1, s28
	s_delay_alu instid0(VALU_DEP_4) | instskip(SKIP_2) | instid1(VALU_DEP_3)
	v_cmp_ne_u32_e64 s66, 0, v83
	v_cndmask_b32_e64 v83, 0, 1, s26
	v_cmp_ne_u32_e64 s67, 0, v84
	v_xor_b32_e32 v84, s66, v14
	s_delay_alu instid0(VALU_DEP_3) | instskip(NEXT) | instid1(VALU_DEP_3)
	v_cmp_ne_u32_e64 s66, 0, v83
	v_xor_b32_e32 v83, s67, v43
	v_cmp_ne_u32_e64 s67, 0, v85
	s_delay_alu instid0(VALU_DEP_4) | instskip(NEXT) | instid1(VALU_DEP_4)
	v_and_b32_e32 v84, exec_lo, v84
	v_xor_b32_e32 v85, s66, v44
	v_cmp_ne_u32_e64 s66, 0, v86
	s_delay_alu instid0(VALU_DEP_4) | instskip(NEXT) | instid1(VALU_DEP_4)
	v_xor_b32_e32 v86, s67, v45
	v_and_b32_e32 v83, v84, v83
	v_cndmask_b32_e64 v84, 0, 1, s29
	s_delay_alu instid0(VALU_DEP_2) | instskip(SKIP_1) | instid1(VALU_DEP_3)
	v_and_b32_e32 v83, v83, v85
	v_cndmask_b32_e64 v85, 0, 1, s30
	v_cmp_ne_u32_e64 s67, 0, v84
	v_xor_b32_e32 v84, s66, v46
	s_delay_alu instid0(VALU_DEP_4) | instskip(SKIP_3) | instid1(VALU_DEP_4)
	v_and_b32_e32 v83, v83, v86
	v_cndmask_b32_e64 v86, 0, 1, s31
	v_cmp_ne_u32_e64 s66, 0, v85
	v_xor_b32_e32 v85, s67, v47
	v_and_b32_e32 v83, v83, v84
	s_delay_alu instid0(VALU_DEP_4) | instskip(NEXT) | instid1(VALU_DEP_4)
	v_cmp_ne_u32_e64 s67, 0, v86
	v_xor_b32_e32 v84, s66, v48
	s_delay_alu instid0(VALU_DEP_3) | instskip(SKIP_1) | instid1(VALU_DEP_4)
	v_and_b32_e32 v83, v83, v85
	v_cndmask_b32_e64 v85, 0, 1, s33
	v_xor_b32_e32 v86, s67, v49
	s_mov_b32 s67, exec_lo
	s_delay_alu instid0(VALU_DEP_3) | instskip(NEXT) | instid1(VALU_DEP_3)
	v_and_b32_e32 v83, v83, v84
	v_cmp_ne_u32_e64 s66, 0, v85
	s_delay_alu instid0(VALU_DEP_2) | instskip(NEXT) | instid1(VALU_DEP_2)
	v_and_b32_e32 v83, v83, v86
	v_xor_b32_e32 v84, s66, v50
	s_delay_alu instid0(VALU_DEP_1) | instskip(NEXT) | instid1(VALU_DEP_1)
	v_and_b32_e32 v83, v83, v84
	v_mbcnt_lo_u32_b32 v84, v83, 0
	s_delay_alu instid0(VALU_DEP_1)
	v_cmpx_eq_u32_e32 0, v84
	s_cbranch_execz .LBB16_12
; %bb.11:                               ;   in Loop: Header=BB16_2 Depth=1
	v_bcnt_u32_b32 v83, v83, 0
	ds_add_u32 v10, v83
.LBB16_12:                              ;   in Loop: Header=BB16_2 Depth=1
	s_or_b32 exec_lo, exec_lo, s67
	v_cndmask_b32_e64 v83, 0, 1, s74
	v_cndmask_b32_e64 v84, 0, 1, s34
	v_cndmask_b32_e64 v85, 0, 1, s36
	v_cndmask_b32_e64 v86, 0, 1, s37
	s_delay_alu instid0(VALU_DEP_4) | instskip(SKIP_2) | instid1(VALU_DEP_3)
	v_cmp_ne_u32_e64 s66, 0, v83
	v_cndmask_b32_e64 v83, 0, 1, s35
	v_cmp_ne_u32_e64 s67, 0, v84
	v_xor_b32_e32 v84, s66, v15
	s_delay_alu instid0(VALU_DEP_3) | instskip(NEXT) | instid1(VALU_DEP_3)
	v_cmp_ne_u32_e64 s66, 0, v83
	v_xor_b32_e32 v83, s67, v51
	v_cmp_ne_u32_e64 s67, 0, v85
	s_delay_alu instid0(VALU_DEP_4) | instskip(NEXT) | instid1(VALU_DEP_4)
	v_and_b32_e32 v84, exec_lo, v84
	v_xor_b32_e32 v85, s66, v52
	v_cmp_ne_u32_e64 s66, 0, v86
	s_delay_alu instid0(VALU_DEP_4) | instskip(NEXT) | instid1(VALU_DEP_4)
	v_xor_b32_e32 v86, s67, v53
	v_and_b32_e32 v83, v84, v83
	v_cndmask_b32_e64 v84, 0, 1, s38
	s_delay_alu instid0(VALU_DEP_2) | instskip(SKIP_1) | instid1(VALU_DEP_3)
	v_and_b32_e32 v83, v83, v85
	v_cndmask_b32_e64 v85, 0, 1, s39
	v_cmp_ne_u32_e64 s67, 0, v84
	v_xor_b32_e32 v84, s66, v54
	s_delay_alu instid0(VALU_DEP_4) | instskip(SKIP_3) | instid1(VALU_DEP_4)
	v_and_b32_e32 v83, v83, v86
	v_cndmask_b32_e64 v86, 0, 1, s40
	v_cmp_ne_u32_e64 s66, 0, v85
	v_xor_b32_e32 v85, s67, v55
	v_and_b32_e32 v83, v83, v84
	s_delay_alu instid0(VALU_DEP_4) | instskip(NEXT) | instid1(VALU_DEP_4)
	v_cmp_ne_u32_e64 s67, 0, v86
	v_xor_b32_e32 v84, s66, v56
	s_delay_alu instid0(VALU_DEP_3) | instskip(SKIP_1) | instid1(VALU_DEP_4)
	v_and_b32_e32 v83, v83, v85
	v_cndmask_b32_e64 v85, 0, 1, s41
	v_xor_b32_e32 v86, s67, v57
	s_mov_b32 s67, exec_lo
	s_delay_alu instid0(VALU_DEP_3) | instskip(NEXT) | instid1(VALU_DEP_3)
	v_and_b32_e32 v83, v83, v84
	v_cmp_ne_u32_e64 s66, 0, v85
	s_delay_alu instid0(VALU_DEP_2) | instskip(NEXT) | instid1(VALU_DEP_2)
	v_and_b32_e32 v83, v83, v86
	v_xor_b32_e32 v84, s66, v58
	s_delay_alu instid0(VALU_DEP_1) | instskip(NEXT) | instid1(VALU_DEP_1)
	v_and_b32_e32 v83, v83, v84
	v_mbcnt_lo_u32_b32 v84, v83, 0
	s_delay_alu instid0(VALU_DEP_1)
	v_cmpx_eq_u32_e32 0, v84
	s_cbranch_execz .LBB16_14
; %bb.13:                               ;   in Loop: Header=BB16_2 Depth=1
	v_bcnt_u32_b32 v83, v83, 0
	ds_add_u32 v1, v83
.LBB16_14:                              ;   in Loop: Header=BB16_2 Depth=1
	;; [unrolled: 57-line block ×4, first 2 shown]
	s_or_b32 exec_lo, exec_lo, s67
	v_cndmask_b32_e64 v83, 0, 1, s77
	v_cndmask_b32_e64 v84, 0, 1, s58
	;; [unrolled: 1-line block ×4, first 2 shown]
	s_delay_alu instid0(VALU_DEP_4) | instskip(SKIP_2) | instid1(VALU_DEP_3)
	v_cmp_ne_u32_e64 s66, 0, v83
	v_cndmask_b32_e64 v83, 0, 1, s59
	v_cmp_ne_u32_e64 s67, 0, v84
	v_xor_b32_e32 v84, s66, v18
	s_delay_alu instid0(VALU_DEP_3) | instskip(NEXT) | instid1(VALU_DEP_3)
	v_cmp_ne_u32_e64 s66, 0, v83
	v_xor_b32_e32 v83, s67, v75
	v_cmp_ne_u32_e64 s67, 0, v85
	s_delay_alu instid0(VALU_DEP_4) | instskip(NEXT) | instid1(VALU_DEP_4)
	v_and_b32_e32 v84, exec_lo, v84
	v_xor_b32_e32 v85, s66, v76
	v_cmp_ne_u32_e64 s66, 0, v86
	s_delay_alu instid0(VALU_DEP_4) | instskip(NEXT) | instid1(VALU_DEP_4)
	v_xor_b32_e32 v86, s67, v77
	v_and_b32_e32 v83, v84, v83
	v_cndmask_b32_e64 v84, 0, 1, s62
	s_delay_alu instid0(VALU_DEP_2) | instskip(SKIP_1) | instid1(VALU_DEP_3)
	v_and_b32_e32 v83, v83, v85
	v_cndmask_b32_e64 v85, 0, 1, s63
	v_cmp_ne_u32_e64 s67, 0, v84
	v_xor_b32_e32 v84, s66, v78
	s_delay_alu instid0(VALU_DEP_4) | instskip(SKIP_3) | instid1(VALU_DEP_4)
	v_and_b32_e32 v83, v83, v86
	v_cndmask_b32_e64 v86, 0, 1, s64
	v_cmp_ne_u32_e64 s66, 0, v85
	v_xor_b32_e32 v85, s67, v79
	v_and_b32_e32 v83, v83, v84
	s_delay_alu instid0(VALU_DEP_4) | instskip(NEXT) | instid1(VALU_DEP_4)
	v_cmp_ne_u32_e64 s67, 0, v86
	v_xor_b32_e32 v84, s66, v80
	s_delay_alu instid0(VALU_DEP_3) | instskip(SKIP_1) | instid1(VALU_DEP_4)
	v_and_b32_e32 v83, v83, v85
	v_cndmask_b32_e64 v85, 0, 1, s65
	v_xor_b32_e32 v86, s67, v81
	s_mov_b32 s67, exec_lo
	s_delay_alu instid0(VALU_DEP_3) | instskip(NEXT) | instid1(VALU_DEP_3)
	v_and_b32_e32 v83, v83, v84
	v_cmp_ne_u32_e64 s66, 0, v85
	s_delay_alu instid0(VALU_DEP_2) | instskip(NEXT) | instid1(VALU_DEP_2)
	v_and_b32_e32 v83, v83, v86
	v_xor_b32_e32 v84, s66, v82
	s_delay_alu instid0(VALU_DEP_1) | instskip(NEXT) | instid1(VALU_DEP_1)
	v_and_b32_e32 v83, v83, v84
	v_mbcnt_lo_u32_b32 v84, v83, 0
	s_delay_alu instid0(VALU_DEP_1)
	v_cmpx_eq_u32_e32 0, v84
	s_cbranch_execz .LBB16_1
; %bb.19:                               ;   in Loop: Header=BB16_2 Depth=1
	v_bcnt_u32_b32 v83, v83, 0
	ds_add_u32 v4, v83
	s_branch .LBB16_1
.LBB16_20:
	s_and_saveexec_b32 s0, vcc_lo
	s_cbranch_execz .LBB16_22
; %bb.21:
	ds_load_b32 v2, v6
	v_lshl_or_b32 v0, s15, 9, v0
	v_mov_b32_e32 v1, 0
	s_delay_alu instid0(VALU_DEP_1) | instskip(NEXT) | instid1(VALU_DEP_1)
	v_lshlrev_b64 v[0:1], 2, v[0:1]
	v_add_co_u32 v0, vcc_lo, s70, v0
	s_delay_alu instid0(VALU_DEP_2)
	v_add_co_ci_u32_e32 v1, vcc_lo, s71, v1, vcc_lo
	s_waitcnt lgkmcnt(0)
	global_store_b32 v[0:1], v2, off
.LBB16_22:
	s_nop 0
	s_sendmsg sendmsg(MSG_DEALLOC_VGPRS)
	s_endpgm
	.section	.rodata,"a",@progbits
	.p2align	6, 0x0
	.amdhsa_kernel _Z6kernelI9histogramILN6hipcub23BlockHistogramAlgorithmE0EEiLj512ELj8ELj512ELj100EEvPKT0_PS4_
		.amdhsa_group_segment_fixed_size 2048
		.amdhsa_private_segment_fixed_size 0
		.amdhsa_kernarg_size 16
		.amdhsa_user_sgpr_count 15
		.amdhsa_user_sgpr_dispatch_ptr 0
		.amdhsa_user_sgpr_queue_ptr 0
		.amdhsa_user_sgpr_kernarg_segment_ptr 1
		.amdhsa_user_sgpr_dispatch_id 0
		.amdhsa_user_sgpr_private_segment_size 0
		.amdhsa_wavefront_size32 1
		.amdhsa_uses_dynamic_stack 0
		.amdhsa_enable_private_segment 0
		.amdhsa_system_sgpr_workgroup_id_x 1
		.amdhsa_system_sgpr_workgroup_id_y 0
		.amdhsa_system_sgpr_workgroup_id_z 0
		.amdhsa_system_sgpr_workgroup_info 0
		.amdhsa_system_vgpr_workitem_id 0
		.amdhsa_next_free_vgpr 139
		.amdhsa_next_free_sgpr 79
		.amdhsa_reserve_vcc 1
		.amdhsa_float_round_mode_32 0
		.amdhsa_float_round_mode_16_64 0
		.amdhsa_float_denorm_mode_32 3
		.amdhsa_float_denorm_mode_16_64 3
		.amdhsa_dx10_clamp 1
		.amdhsa_ieee_mode 1
		.amdhsa_fp16_overflow 0
		.amdhsa_workgroup_processor_mode 1
		.amdhsa_memory_ordered 1
		.amdhsa_forward_progress 0
		.amdhsa_shared_vgpr_count 0
		.amdhsa_exception_fp_ieee_invalid_op 0
		.amdhsa_exception_fp_denorm_src 0
		.amdhsa_exception_fp_ieee_div_zero 0
		.amdhsa_exception_fp_ieee_overflow 0
		.amdhsa_exception_fp_ieee_underflow 0
		.amdhsa_exception_fp_ieee_inexact 0
		.amdhsa_exception_int_div_zero 0
	.end_amdhsa_kernel
	.section	.text._Z6kernelI9histogramILN6hipcub23BlockHistogramAlgorithmE0EEiLj512ELj8ELj512ELj100EEvPKT0_PS4_,"axG",@progbits,_Z6kernelI9histogramILN6hipcub23BlockHistogramAlgorithmE0EEiLj512ELj8ELj512ELj100EEvPKT0_PS4_,comdat
.Lfunc_end16:
	.size	_Z6kernelI9histogramILN6hipcub23BlockHistogramAlgorithmE0EEiLj512ELj8ELj512ELj100EEvPKT0_PS4_, .Lfunc_end16-_Z6kernelI9histogramILN6hipcub23BlockHistogramAlgorithmE0EEiLj512ELj8ELj512ELj100EEvPKT0_PS4_
                                        ; -- End function
	.section	.AMDGPU.csdata,"",@progbits
; Kernel info:
; codeLenInByte = 4084
; NumSgprs: 81
; NumVgprs: 139
; ScratchSize: 0
; MemoryBound: 0
; FloatMode: 240
; IeeeMode: 1
; LDSByteSize: 2048 bytes/workgroup (compile time only)
; SGPRBlocks: 10
; VGPRBlocks: 17
; NumSGPRsForWavesPerEU: 81
; NumVGPRsForWavesPerEU: 139
; Occupancy: 10
; WaveLimiterHint : 0
; COMPUTE_PGM_RSRC2:SCRATCH_EN: 0
; COMPUTE_PGM_RSRC2:USER_SGPR: 15
; COMPUTE_PGM_RSRC2:TRAP_HANDLER: 0
; COMPUTE_PGM_RSRC2:TGID_X_EN: 1
; COMPUTE_PGM_RSRC2:TGID_Y_EN: 0
; COMPUTE_PGM_RSRC2:TGID_Z_EN: 0
; COMPUTE_PGM_RSRC2:TIDIG_COMP_CNT: 0
	.section	.text._Z6kernelI9histogramILN6hipcub23BlockHistogramAlgorithmE0EEiLj512ELj16ELj512ELj100EEvPKT0_PS4_,"axG",@progbits,_Z6kernelI9histogramILN6hipcub23BlockHistogramAlgorithmE0EEiLj512ELj16ELj512ELj100EEvPKT0_PS4_,comdat
	.protected	_Z6kernelI9histogramILN6hipcub23BlockHistogramAlgorithmE0EEiLj512ELj16ELj512ELj100EEvPKT0_PS4_ ; -- Begin function _Z6kernelI9histogramILN6hipcub23BlockHistogramAlgorithmE0EEiLj512ELj16ELj512ELj100EEvPKT0_PS4_
	.globl	_Z6kernelI9histogramILN6hipcub23BlockHistogramAlgorithmE0EEiLj512ELj16ELj512ELj100EEvPKT0_PS4_
	.p2align	8
	.type	_Z6kernelI9histogramILN6hipcub23BlockHistogramAlgorithmE0EEiLj512ELj16ELj512ELj100EEvPKT0_PS4_,@function
_Z6kernelI9histogramILN6hipcub23BlockHistogramAlgorithmE0EEiLj512ELj16ELj512ELj100EEvPKT0_PS4_: ; @_Z6kernelI9histogramILN6hipcub23BlockHistogramAlgorithmE0EEiLj512ELj16ELj512ELj100EEvPKT0_PS4_
; %bb.0:
	s_load_b128 s[0:3], s[0:1], 0x0
	v_lshlrev_b32_e32 v1, 4, v0
	v_mov_b32_e32 v13, 0
                                        ; implicit-def: $vgpr168 : SGPR spill to VGPR lane
                                        ; implicit-def: $vgpr167 : SGPR spill to VGPR lane
	s_movk_i32 s37, 0x64
	v_writelane_b32 v168, s15, 0
	s_delay_alu instid0(VALU_DEP_3) | instskip(NEXT) | instid1(VALU_DEP_1)
	v_lshl_or_b32 v12, s15, 13, v1
	v_lshlrev_b64 v[1:2], 2, v[12:13]
	s_waitcnt lgkmcnt(0)
	s_delay_alu instid0(VALU_DEP_1) | instskip(SKIP_1) | instid1(VALU_DEP_3)
	v_add_co_u32 v14, vcc_lo, s0, v1
	v_writelane_b32 v168, s0, 1
	v_add_co_ci_u32_e32 v15, vcc_lo, s1, v2, vcc_lo
	s_clause 0x3
	global_load_b128 v[1:4], v[14:15], off offset:48
	global_load_b128 v[5:8], v[14:15], off offset:32
	;; [unrolled: 1-line block ×3, first 2 shown]
	global_load_b128 v[51:54], v[14:15], off
	v_lshlrev_b32_e32 v14, 2, v0
	v_writelane_b32 v168, s1, 2
	v_writelane_b32 v168, s2, 3
	;; [unrolled: 1-line block ×3, first 2 shown]
	v_cmp_gt_u32_e64 s0, 0x200, v0
	s_delay_alu instid0(VALU_DEP_1)
	v_writelane_b32 v168, s0, 5
	s_waitcnt vmcnt(3)
	v_lshlrev_b32_e32 v128, 30, v1
	s_waitcnt vmcnt(2)
	v_lshlrev_b32_e32 v92, 30, v5
	s_waitcnt vmcnt(1)
	v_and_b32_e32 v55, 1, v9
	s_waitcnt vmcnt(0)
	v_and_b32_e32 v15, 1, v51
	v_lshlrev_b32_e32 v16, 30, v51
	v_lshlrev_b32_e32 v17, 29, v51
	;; [unrolled: 1-line block ×4, first 2 shown]
	v_add_co_u32 v15, s0, v15, -1
	s_delay_alu instid0(VALU_DEP_1)
	v_writelane_b32 v168, s0, 6
	v_cmp_gt_i32_e64 s0, 0, v16
	v_lshlrev_b32_e32 v20, 26, v51
	v_lshlrev_b32_e32 v21, 25, v51
	;; [unrolled: 1-line block ×4, first 2 shown]
	v_writelane_b32 v168, s0, 7
	v_cmp_gt_i32_e64 s0, 0, v17
	v_and_b32_e32 v25, 1, v52
	v_lshlrev_b32_e32 v26, 30, v52
	v_lshlrev_b32_e32 v27, 29, v52
	;; [unrolled: 1-line block ×3, first 2 shown]
	v_writelane_b32 v168, s0, 8
	v_cmp_gt_i32_e64 s0, 0, v18
	v_lshlrev_b32_e32 v29, 27, v52
	v_lshlrev_b32_e32 v30, 26, v52
	;; [unrolled: 1-line block ×4, first 2 shown]
	v_writelane_b32 v168, s0, 9
	v_cmp_gt_i32_e64 s0, 0, v19
	v_lshlrev_b32_e32 v33, 23, v52
	v_and_b32_e32 v35, 1, v53
	v_lshlrev_b32_e32 v36, 30, v53
	v_lshlrev_b32_e32 v37, 29, v53
	v_writelane_b32 v168, s0, 10
	v_cmp_gt_i32_e64 s0, 0, v20
	v_lshlrev_b32_e32 v38, 28, v53
	v_lshlrev_b32_e32 v39, 27, v53
	;; [unrolled: 1-line block ×4, first 2 shown]
	v_writelane_b32 v168, s0, 11
	v_cmp_gt_i32_e64 s0, 0, v21
	v_lshlrev_b32_e32 v42, 24, v53
	v_lshlrev_b32_e32 v43, 23, v53
	v_and_b32_e32 v45, 1, v54
	v_lshlrev_b32_e32 v46, 30, v54
	v_writelane_b32 v168, s0, 12
	v_cmp_gt_i32_e64 s0, 0, v22
	v_lshlrev_b32_e32 v47, 29, v54
	v_lshlrev_b32_e32 v48, 28, v54
	v_lshlrev_b32_e32 v49, 27, v54
	v_lshlrev_b32_e32 v50, 26, v54
	v_writelane_b32 v168, s0, 13
	v_cmp_gt_i32_e64 s0, 0, v23
	v_lshlrev_b32_e32 v24, 2, v51
	v_lshlrev_b32_e32 v51, 25, v54
	v_lshlrev_b32_e32 v34, 2, v52
	v_lshlrev_b32_e32 v52, 24, v54
	v_writelane_b32 v168, s0, 14
	v_add_co_u32 v25, s0, v25, -1
	v_lshlrev_b32_e32 v44, 2, v53
	v_lshlrev_b32_e32 v53, 23, v54
	v_writelane_b32 v168, s0, 15
	v_cmp_gt_i32_e64 s0, 0, v26
	v_lshlrev_b32_e32 v56, 30, v9
	v_lshlrev_b32_e32 v57, 29, v9
	v_lshlrev_b32_e32 v58, 28, v9
	v_lshlrev_b32_e32 v59, 27, v9
	v_writelane_b32 v168, s0, 16
	v_cmp_gt_i32_e64 s0, 0, v27
	v_lshlrev_b32_e32 v60, 26, v9
	v_lshlrev_b32_e32 v61, 25, v9
	v_lshlrev_b32_e32 v62, 24, v9
	v_lshlrev_b32_e32 v63, 23, v9
	v_writelane_b32 v168, s0, 17
	v_cmp_gt_i32_e64 s0, 0, v28
	v_lshlrev_b32_e32 v65, 30, v10
	v_lshlrev_b32_e32 v66, 29, v10
	v_lshlrev_b32_e32 v67, 28, v10
	v_lshlrev_b32_e32 v68, 27, v10
	v_writelane_b32 v168, s0, 18
	v_cmp_gt_i32_e64 s0, 0, v29
	v_lshlrev_b32_e32 v69, 26, v10
	v_lshlrev_b32_e32 v70, 25, v10
	v_lshlrev_b32_e32 v71, 24, v10
	v_lshlrev_b32_e32 v72, 23, v10
	v_writelane_b32 v168, s0, 19
	v_cmp_gt_i32_e64 s0, 0, v30
	v_lshlrev_b32_e32 v74, 30, v11
	v_lshlrev_b32_e32 v75, 29, v11
	v_lshlrev_b32_e32 v76, 28, v11
	v_lshlrev_b32_e32 v77, 27, v11
	v_writelane_b32 v168, s0, 20
	v_cmp_gt_i32_e64 s0, 0, v31
	v_lshlrev_b32_e32 v78, 26, v11
	v_lshlrev_b32_e32 v79, 25, v11
	v_lshlrev_b32_e32 v80, 24, v11
	v_lshlrev_b32_e32 v81, 23, v11
	v_writelane_b32 v168, s0, 21
	v_cmp_gt_i32_e64 s0, 0, v32
	v_lshlrev_b32_e32 v83, 30, v12
	v_lshlrev_b32_e32 v84, 29, v12
	v_lshlrev_b32_e32 v85, 28, v12
	v_lshlrev_b32_e32 v86, 27, v12
	v_writelane_b32 v168, s0, 22
	v_cmp_gt_i32_e64 s0, 0, v33
	v_lshlrev_b32_e32 v87, 26, v12
	v_lshlrev_b32_e32 v88, 25, v12
	v_lshlrev_b32_e32 v89, 24, v12
	v_lshlrev_b32_e32 v90, 23, v12
	v_writelane_b32 v168, s0, 23
	v_add_co_u32 v35, s0, v35, -1
	v_lshlrev_b32_e32 v93, 29, v5
	v_lshlrev_b32_e32 v94, 28, v5
	v_writelane_b32 v168, s0, 24
	v_cmp_gt_i32_e64 s0, 0, v36
	v_lshlrev_b32_e32 v95, 27, v5
	v_lshlrev_b32_e32 v96, 26, v5
	v_lshlrev_b32_e32 v97, 25, v5
	v_lshlrev_b32_e32 v98, 24, v5
	v_writelane_b32 v168, s0, 25
	v_cmp_gt_i32_e64 s0, 0, v37
	v_lshlrev_b32_e32 v99, 23, v5
	v_lshlrev_b32_e32 v101, 30, v6
	v_lshlrev_b32_e32 v102, 29, v6
	v_lshlrev_b32_e32 v103, 28, v6
	v_writelane_b32 v168, s0, 26
	v_cmp_gt_i32_e64 s0, 0, v38
	v_lshlrev_b32_e32 v104, 27, v6
	v_lshlrev_b32_e32 v105, 26, v6
	v_lshlrev_b32_e32 v106, 25, v6
	v_lshlrev_b32_e32 v107, 24, v6
	v_writelane_b32 v168, s0, 27
	v_cmp_gt_i32_e64 s0, 0, v39
	v_lshlrev_b32_e32 v108, 23, v6
	v_lshlrev_b32_e32 v110, 30, v7
	v_lshlrev_b32_e32 v111, 29, v7
	v_lshlrev_b32_e32 v112, 28, v7
	v_writelane_b32 v168, s0, 28
	v_cmp_gt_i32_e64 s0, 0, v40
	v_lshlrev_b32_e32 v113, 27, v7
	v_lshlrev_b32_e32 v114, 26, v7
	v_lshlrev_b32_e32 v115, 25, v7
	v_lshlrev_b32_e32 v116, 24, v7
	v_writelane_b32 v168, s0, 29
	v_cmp_gt_i32_e64 s0, 0, v41
	v_lshlrev_b32_e32 v117, 23, v7
	v_lshlrev_b32_e32 v119, 30, v8
	v_lshlrev_b32_e32 v120, 29, v8
	;; [unrolled: 52-line block ×3, first 2 shown]
	v_lshlrev_b32_e32 v160, 25, v4
	v_writelane_b32 v167, s0, 7
	v_cmp_gt_i32_e64 s0, 0, v52
	v_lshlrev_b32_e32 v161, 24, v4
	v_lshlrev_b32_e32 v162, 23, v4
	v_not_b32_e32 v16, v16
	v_not_b32_e32 v17, v17
	v_writelane_b32 v167, s0, 8
	v_cmp_gt_i32_e64 s0, 0, v53
	v_not_b32_e32 v18, v18
	v_not_b32_e32 v19, v19
	;; [unrolled: 1-line block ×4, first 2 shown]
	v_writelane_b32 v167, s0, 9
	v_add_co_u32 v55, s0, v55, -1
	v_not_b32_e32 v22, v22
	v_not_b32_e32 v23, v23
	v_writelane_b32 v167, s0, 10
	v_cmp_gt_i32_e64 s0, 0, v56
	v_not_b32_e32 v26, v26
	v_not_b32_e32 v27, v27
	v_not_b32_e32 v28, v28
	v_not_b32_e32 v29, v29
	v_writelane_b32 v167, s0, 11
	v_cmp_gt_i32_e64 s0, 0, v57
	v_not_b32_e32 v30, v30
	v_not_b32_e32 v31, v31
	;; [unrolled: 6-line block ×4, first 2 shown]
	v_not_b32_e32 v42, v42
	v_not_b32_e32 v43, v43
	v_not_b32_e32 v46, v46
	v_not_b32_e32 v47, v47
	v_not_b32_e32 v48, v48
	v_not_b32_e32 v49, v49
	v_not_b32_e32 v50, v50
	v_not_b32_e32 v51, v51
	v_not_b32_e32 v52, v52
	v_not_b32_e32 v53, v53
	v_not_b32_e32 v56, v56
	v_not_b32_e32 v57, v57
	v_not_b32_e32 v58, v58
	v_writelane_b32 v167, s0, 14
	v_not_b32_e32 v59, v59
	v_cmp_gt_i32_e64 s38, 0, v60
	v_not_b32_e32 v60, v60
	v_cmp_gt_i32_e64 s39, 0, v61
	v_not_b32_e32 v61, v61
	v_cmp_gt_i32_e64 s40, 0, v62
	v_not_b32_e32 v62, v62
	v_cmp_gt_i32_e64 s41, 0, v63
	v_not_b32_e32 v63, v63
	v_and_b32_e32 v64, 1, v10
	v_cmp_gt_i32_e64 s42, 0, v65
	v_not_b32_e32 v65, v65
	v_cmp_gt_i32_e64 s43, 0, v66
	v_not_b32_e32 v66, v66
	v_cmp_gt_i32_e64 s44, 0, v67
	v_not_b32_e32 v67, v67
	v_cmp_gt_i32_e64 s45, 0, v68
	v_not_b32_e32 v68, v68
	v_cmp_gt_i32_e64 s46, 0, v69
	v_not_b32_e32 v69, v69
	v_cmp_gt_i32_e64 s47, 0, v70
	v_not_b32_e32 v70, v70
	v_cmp_gt_i32_e64 s48, 0, v71
	v_not_b32_e32 v71, v71
	v_cmp_gt_i32_e64 s49, 0, v72
	v_not_b32_e32 v72, v72
	v_and_b32_e32 v73, 1, v11
	v_cmp_gt_i32_e64 s50, 0, v74
	v_not_b32_e32 v74, v74
	v_cmp_gt_i32_e64 s51, 0, v75
	v_not_b32_e32 v75, v75
	v_cmp_gt_i32_e64 s52, 0, v76
	v_not_b32_e32 v76, v76
	v_cmp_gt_i32_e64 s53, 0, v77
	;; [unrolled: 17-line block ×8, first 2 shown]
	v_not_b32_e32 v131, v131
	v_cmp_gt_i32_e64 s102, 0, v132
	v_not_b32_e32 v132, v132
	v_cmp_gt_i32_e64 s103, 0, v133
	;; [unrolled: 2-line block ×3, first 2 shown]
	v_not_b32_e32 v134, v134
	v_cmp_gt_i32_e64 vcc_hi, 0, v135
	v_not_b32_e32 v135, v135
	v_and_b32_e32 v136, 1, v2
	v_cmp_gt_i32_e64 s15, 0, v137
	v_not_b32_e32 v137, v137
	v_cmp_gt_i32_e64 s1, 0, v138
	v_not_b32_e32 v138, v138
	v_cmp_gt_i32_e64 s2, 0, v139
	v_not_b32_e32 v139, v139
	v_cmp_gt_i32_e64 s3, 0, v140
	v_not_b32_e32 v140, v140
	v_cmp_gt_i32_e64 s4, 0, v141
	v_not_b32_e32 v141, v141
	v_cmp_gt_i32_e64 s5, 0, v142
	v_not_b32_e32 v142, v142
	v_cmp_gt_i32_e64 s6, 0, v143
	v_not_b32_e32 v143, v143
	v_cmp_gt_i32_e64 s7, 0, v144
	v_not_b32_e32 v144, v144
	v_and_b32_e32 v145, 1, v3
	v_cmp_gt_i32_e64 s0, 0, v146
	v_not_b32_e32 v146, v146
	v_cmp_gt_i32_e64 s8, 0, v147
	v_not_b32_e32 v147, v147
	v_cmp_gt_i32_e64 s9, 0, v148
	v_not_b32_e32 v148, v148
	v_cmp_gt_i32_e64 s10, 0, v149
	v_not_b32_e32 v149, v149
	v_cmp_gt_i32_e64 s11, 0, v150
	v_not_b32_e32 v150, v150
	v_cmp_gt_i32_e64 s12, 0, v151
	v_not_b32_e32 v151, v151
	v_cmp_gt_i32_e64 s13, 0, v152
	v_not_b32_e32 v152, v152
	v_cmp_gt_i32_e64 s14, 0, v153
	;; [unrolled: 17-line block ×3, first 2 shown]
	v_not_b32_e32 v162, v162
	v_ashrrev_i32_e32 v16, 31, v16
	v_ashrrev_i32_e32 v17, 31, v17
	v_ashrrev_i32_e32 v18, 31, v18
	v_ashrrev_i32_e32 v19, 31, v19
	v_ashrrev_i32_e32 v20, 31, v20
	v_ashrrev_i32_e32 v21, 31, v21
	v_ashrrev_i32_e32 v22, 31, v22
	v_ashrrev_i32_e32 v23, 31, v23
	v_ashrrev_i32_e32 v26, 31, v26
	v_ashrrev_i32_e32 v27, 31, v27
	v_ashrrev_i32_e32 v28, 31, v28
	v_ashrrev_i32_e32 v29, 31, v29
	v_ashrrev_i32_e32 v30, 31, v30
	v_ashrrev_i32_e32 v31, 31, v31
	v_ashrrev_i32_e32 v32, 31, v32
	v_ashrrev_i32_e32 v33, 31, v33
	v_ashrrev_i32_e32 v36, 31, v36
	v_ashrrev_i32_e32 v37, 31, v37
	v_ashrrev_i32_e32 v38, 31, v38
	v_ashrrev_i32_e32 v39, 31, v39
	v_ashrrev_i32_e32 v40, 31, v40
	v_ashrrev_i32_e32 v41, 31, v41
	v_ashrrev_i32_e32 v42, 31, v42
	v_ashrrev_i32_e32 v43, 31, v43
	v_ashrrev_i32_e32 v46, 31, v46
	v_ashrrev_i32_e32 v47, 31, v47
	v_ashrrev_i32_e32 v48, 31, v48
	v_ashrrev_i32_e32 v49, 31, v49
	v_ashrrev_i32_e32 v50, 31, v50
	v_ashrrev_i32_e32 v51, 31, v51
	v_ashrrev_i32_e32 v52, 31, v52
	v_ashrrev_i32_e32 v53, 31, v53
	v_lshlrev_b32_e32 v54, 2, v54
	v_ashrrev_i32_e32 v56, 31, v56
	v_ashrrev_i32_e32 v57, 31, v57
	v_ashrrev_i32_e32 v58, 31, v58
	v_ashrrev_i32_e32 v59, 31, v59
	v_ashrrev_i32_e32 v60, 31, v60
	v_ashrrev_i32_e32 v61, 31, v61
	v_ashrrev_i32_e32 v62, 31, v62
	v_ashrrev_i32_e32 v63, 31, v63
	v_lshlrev_b32_e32 v9, 2, v9
	v_add_co_u32 v64, s26, v64, -1
	v_ashrrev_i32_e32 v65, 31, v65
	v_ashrrev_i32_e32 v66, 31, v66
	v_ashrrev_i32_e32 v67, 31, v67
	v_ashrrev_i32_e32 v68, 31, v68
	v_ashrrev_i32_e32 v69, 31, v69
	v_ashrrev_i32_e32 v70, 31, v70
	v_ashrrev_i32_e32 v71, 31, v71
	v_ashrrev_i32_e32 v72, 31, v72
	v_lshlrev_b32_e32 v10, 2, v10
	v_add_co_u32 v73, s27, v73, -1
	v_ashrrev_i32_e32 v74, 31, v74
	v_ashrrev_i32_e32 v75, 31, v75
	v_ashrrev_i32_e32 v76, 31, v76
	v_ashrrev_i32_e32 v77, 31, v77
	v_ashrrev_i32_e32 v78, 31, v78
	v_ashrrev_i32_e32 v79, 31, v79
	v_ashrrev_i32_e32 v80, 31, v80
	v_ashrrev_i32_e32 v81, 31, v81
	v_lshlrev_b32_e32 v11, 2, v11
	v_add_co_u32 v82, s28, v82, -1
	v_ashrrev_i32_e32 v83, 31, v83
	v_ashrrev_i32_e32 v84, 31, v84
	v_ashrrev_i32_e32 v85, 31, v85
	v_ashrrev_i32_e32 v86, 31, v86
	v_ashrrev_i32_e32 v87, 31, v87
	v_ashrrev_i32_e32 v88, 31, v88
	v_ashrrev_i32_e32 v89, 31, v89
	v_ashrrev_i32_e32 v90, 31, v90
	v_lshlrev_b32_e32 v12, 2, v12
	v_add_co_u32 v91, s29, v91, -1
	v_ashrrev_i32_e32 v92, 31, v92
	v_ashrrev_i32_e32 v93, 31, v93
	v_ashrrev_i32_e32 v94, 31, v94
	v_ashrrev_i32_e32 v95, 31, v95
	v_ashrrev_i32_e32 v96, 31, v96
	v_ashrrev_i32_e32 v97, 31, v97
	v_ashrrev_i32_e32 v98, 31, v98
	v_ashrrev_i32_e32 v99, 31, v99
	v_lshlrev_b32_e32 v5, 2, v5
	v_add_co_u32 v100, s30, v100, -1
	v_ashrrev_i32_e32 v101, 31, v101
	v_ashrrev_i32_e32 v102, 31, v102
	v_ashrrev_i32_e32 v103, 31, v103
	v_ashrrev_i32_e32 v104, 31, v104
	v_ashrrev_i32_e32 v105, 31, v105
	v_ashrrev_i32_e32 v106, 31, v106
	v_ashrrev_i32_e32 v107, 31, v107
	v_ashrrev_i32_e32 v108, 31, v108
	v_lshlrev_b32_e32 v6, 2, v6
	v_add_co_u32 v109, s31, v109, -1
	v_ashrrev_i32_e32 v110, 31, v110
	v_ashrrev_i32_e32 v111, 31, v111
	v_ashrrev_i32_e32 v112, 31, v112
	v_ashrrev_i32_e32 v113, 31, v113
	v_ashrrev_i32_e32 v114, 31, v114
	v_ashrrev_i32_e32 v115, 31, v115
	v_ashrrev_i32_e32 v116, 31, v116
	v_ashrrev_i32_e32 v117, 31, v117
	v_lshlrev_b32_e32 v7, 2, v7
	v_add_co_u32 v118, s33, v118, -1
	v_ashrrev_i32_e32 v119, 31, v119
	v_ashrrev_i32_e32 v120, 31, v120
	v_ashrrev_i32_e32 v121, 31, v121
	v_ashrrev_i32_e32 v122, 31, v122
	v_ashrrev_i32_e32 v123, 31, v123
	v_ashrrev_i32_e32 v124, 31, v124
	v_ashrrev_i32_e32 v125, 31, v125
	v_ashrrev_i32_e32 v126, 31, v126
	v_lshlrev_b32_e32 v8, 2, v8
	v_add_co_u32 v127, s25, v127, -1
	v_ashrrev_i32_e32 v128, 31, v128
	v_ashrrev_i32_e32 v129, 31, v129
	v_ashrrev_i32_e32 v130, 31, v130
	v_ashrrev_i32_e32 v131, 31, v131
	v_ashrrev_i32_e32 v132, 31, v132
	v_ashrrev_i32_e32 v133, 31, v133
	v_ashrrev_i32_e32 v134, 31, v134
	v_ashrrev_i32_e32 v135, 31, v135
	v_lshlrev_b32_e32 v1, 2, v1
	v_add_co_u32 v136, s34, v136, -1
	v_ashrrev_i32_e32 v137, 31, v137
	v_ashrrev_i32_e32 v138, 31, v138
	v_ashrrev_i32_e32 v139, 31, v139
	v_ashrrev_i32_e32 v140, 31, v140
	v_ashrrev_i32_e32 v141, 31, v141
	v_ashrrev_i32_e32 v142, 31, v142
	v_ashrrev_i32_e32 v143, 31, v143
	v_ashrrev_i32_e32 v144, 31, v144
	v_lshlrev_b32_e32 v2, 2, v2
	v_add_co_u32 v145, s35, v145, -1
	v_ashrrev_i32_e32 v146, 31, v146
	v_ashrrev_i32_e32 v147, 31, v147
	v_ashrrev_i32_e32 v148, 31, v148
	v_ashrrev_i32_e32 v149, 31, v149
	v_ashrrev_i32_e32 v150, 31, v150
	v_ashrrev_i32_e32 v151, 31, v151
	v_ashrrev_i32_e32 v152, 31, v152
	v_ashrrev_i32_e32 v153, 31, v153
	v_lshlrev_b32_e32 v3, 2, v3
	v_add_co_u32 v154, s36, v154, -1
	v_ashrrev_i32_e32 v155, 31, v155
	v_ashrrev_i32_e32 v156, 31, v156
	;; [unrolled: 1-line block ×8, first 2 shown]
	v_lshlrev_b32_e32 v4, 2, v4
	s_branch .LBB17_2
.LBB17_1:                               ;   in Loop: Header=BB17_2 Depth=1
	s_or_b32 exec_lo, exec_lo, s24
	s_add_i32 s37, s37, -1
	s_waitcnt lgkmcnt(0)
	s_cmp_eq_u32 s37, 0
	s_barrier
	buffer_gl0_inv
	s_cbranch_scc1 .LBB17_36
.LBB17_2:                               ; =>This Inner Loop Header: Depth=1
	s_mov_b32 s24, exec_lo
	v_readlane_b32 vcc_lo, v168, 5
	s_delay_alu instid0(VALU_DEP_1) | instskip(NEXT) | instid1(SALU_CYCLE_1)
	s_and_b32 vcc_lo, s24, vcc_lo
	s_mov_b32 exec_lo, vcc_lo
	s_cbranch_execz .LBB17_4
; %bb.3:                                ;   in Loop: Header=BB17_2 Depth=1
	ds_store_b32 v14, v13
.LBB17_4:                               ;   in Loop: Header=BB17_2 Depth=1
	s_or_b32 exec_lo, exec_lo, s24
	v_readlane_b32 s24, v168, 6
	s_waitcnt lgkmcnt(0)
	s_barrier
	buffer_gl0_inv
	v_cndmask_b32_e64 v163, 0, 1, s24
	v_readlane_b32 s24, v168, 7
	s_delay_alu instid0(VALU_DEP_2) | instskip(NEXT) | instid1(VALU_DEP_2)
	v_cmp_ne_u32_e32 vcc_lo, 0, v163
	v_cndmask_b32_e64 v164, 0, 1, s24
	v_readlane_b32 s24, v168, 8
	s_delay_alu instid0(VALU_DEP_1) | instskip(NEXT) | instid1(VALU_DEP_3)
	v_cndmask_b32_e64 v163, 0, 1, s24
	v_cmp_ne_u32_e64 s24, 0, v164
	v_xor_b32_e32 v164, vcc_lo, v15
	v_readlane_b32 vcc_lo, v168, 9
	s_delay_alu instid0(VALU_DEP_2) | instskip(NEXT) | instid1(VALU_DEP_2)
	v_and_b32_e32 v164, exec_lo, v164
	v_cndmask_b32_e64 v165, 0, 1, vcc_lo
	v_cmp_ne_u32_e32 vcc_lo, 0, v163
	v_xor_b32_e32 v163, s24, v16
	v_readlane_b32 s24, v168, 10
	s_delay_alu instid0(VALU_DEP_2) | instskip(NEXT) | instid1(VALU_DEP_2)
	v_and_b32_e32 v163, v164, v163
	v_cndmask_b32_e64 v166, 0, 1, s24
	v_cmp_ne_u32_e64 s24, 0, v165
	v_xor_b32_e32 v165, vcc_lo, v17
	v_readlane_b32 vcc_lo, v168, 11
	s_delay_alu instid0(VALU_DEP_2) | instskip(NEXT) | instid1(VALU_DEP_2)
	v_and_b32_e32 v163, v163, v165
	v_cndmask_b32_e64 v164, 0, 1, vcc_lo
	v_cmp_ne_u32_e32 vcc_lo, 0, v166
	v_xor_b32_e32 v166, s24, v18
	v_readlane_b32 s24, v168, 12
	s_delay_alu instid0(VALU_DEP_2) | instskip(NEXT) | instid1(VALU_DEP_2)
	v_and_b32_e32 v163, v163, v166
	v_cndmask_b32_e64 v165, 0, 1, s24
	v_cmp_ne_u32_e64 s24, 0, v164
	v_xor_b32_e32 v164, vcc_lo, v19
	v_readlane_b32 vcc_lo, v168, 13
	s_delay_alu instid0(VALU_DEP_2) | instskip(NEXT) | instid1(VALU_DEP_2)
	v_and_b32_e32 v163, v163, v164
	v_cndmask_b32_e64 v166, 0, 1, vcc_lo
	v_cmp_ne_u32_e32 vcc_lo, 0, v165
	v_xor_b32_e32 v165, s24, v20
	s_delay_alu instid0(VALU_DEP_3) | instskip(SKIP_2) | instid1(VALU_DEP_4)
	v_cmp_ne_u32_e64 s24, 0, v166
	v_xor_b32_e32 v164, vcc_lo, v21
	v_readlane_b32 vcc_lo, v168, 14
	v_and_b32_e32 v163, v163, v165
	s_delay_alu instid0(VALU_DEP_4) | instskip(SKIP_1) | instid1(VALU_DEP_3)
	v_xor_b32_e32 v166, s24, v22
	s_mov_b32 s24, exec_lo
	v_cndmask_b32_e64 v165, 0, 1, vcc_lo
	s_delay_alu instid0(VALU_DEP_3) | instskip(NEXT) | instid1(VALU_DEP_2)
	v_and_b32_e32 v163, v163, v164
	v_cmp_ne_u32_e32 vcc_lo, 0, v165
	s_delay_alu instid0(VALU_DEP_2) | instskip(SKIP_1) | instid1(VALU_DEP_1)
	v_and_b32_e32 v163, v163, v166
	v_xor_b32_e32 v164, vcc_lo, v23
	v_and_b32_e32 v163, v163, v164
	s_delay_alu instid0(VALU_DEP_1) | instskip(NEXT) | instid1(VALU_DEP_1)
	v_mbcnt_lo_u32_b32 v164, v163, 0
	v_cmpx_eq_u32_e32 0, v164
	s_cbranch_execz .LBB17_6
; %bb.5:                                ;   in Loop: Header=BB17_2 Depth=1
	v_bcnt_u32_b32 v163, v163, 0
	ds_add_u32 v24, v163
.LBB17_6:                               ;   in Loop: Header=BB17_2 Depth=1
	s_or_b32 exec_lo, exec_lo, s24
	v_readlane_b32 s24, v168, 15
	s_delay_alu instid0(VALU_DEP_1) | instskip(SKIP_1) | instid1(VALU_DEP_2)
	v_cndmask_b32_e64 v163, 0, 1, s24
	v_readlane_b32 s24, v168, 16
	v_cmp_ne_u32_e32 vcc_lo, 0, v163
	s_delay_alu instid0(VALU_DEP_2) | instskip(SKIP_1) | instid1(VALU_DEP_1)
	v_cndmask_b32_e64 v164, 0, 1, s24
	v_readlane_b32 s24, v168, 17
	v_cndmask_b32_e64 v163, 0, 1, s24
	s_delay_alu instid0(VALU_DEP_3) | instskip(SKIP_2) | instid1(VALU_DEP_2)
	v_cmp_ne_u32_e64 s24, 0, v164
	v_xor_b32_e32 v164, vcc_lo, v25
	v_readlane_b32 vcc_lo, v168, 18
	v_and_b32_e32 v164, exec_lo, v164
	s_delay_alu instid0(VALU_DEP_2) | instskip(SKIP_3) | instid1(VALU_DEP_2)
	v_cndmask_b32_e64 v165, 0, 1, vcc_lo
	v_cmp_ne_u32_e32 vcc_lo, 0, v163
	v_xor_b32_e32 v163, s24, v26
	v_readlane_b32 s24, v168, 19
	v_and_b32_e32 v163, v164, v163
	s_delay_alu instid0(VALU_DEP_2) | instskip(SKIP_3) | instid1(VALU_DEP_2)
	v_cndmask_b32_e64 v166, 0, 1, s24
	v_cmp_ne_u32_e64 s24, 0, v165
	v_xor_b32_e32 v165, vcc_lo, v27
	v_readlane_b32 vcc_lo, v168, 20
	v_and_b32_e32 v163, v163, v165
	s_delay_alu instid0(VALU_DEP_2) | instskip(SKIP_3) | instid1(VALU_DEP_2)
	v_cndmask_b32_e64 v164, 0, 1, vcc_lo
	v_cmp_ne_u32_e32 vcc_lo, 0, v166
	v_xor_b32_e32 v166, s24, v28
	v_readlane_b32 s24, v168, 21
	v_and_b32_e32 v163, v163, v166
	s_delay_alu instid0(VALU_DEP_2) | instskip(SKIP_3) | instid1(VALU_DEP_2)
	v_cndmask_b32_e64 v165, 0, 1, s24
	v_cmp_ne_u32_e64 s24, 0, v164
	v_xor_b32_e32 v164, vcc_lo, v29
	v_readlane_b32 vcc_lo, v168, 22
	v_and_b32_e32 v163, v163, v164
	s_delay_alu instid0(VALU_DEP_2) | instskip(SKIP_2) | instid1(VALU_DEP_3)
	v_cndmask_b32_e64 v166, 0, 1, vcc_lo
	v_cmp_ne_u32_e32 vcc_lo, 0, v165
	v_xor_b32_e32 v165, s24, v30
	v_cmp_ne_u32_e64 s24, 0, v166
	v_xor_b32_e32 v164, vcc_lo, v31
	v_readlane_b32 vcc_lo, v168, 23
	s_delay_alu instid0(VALU_DEP_4) | instskip(NEXT) | instid1(VALU_DEP_4)
	v_and_b32_e32 v163, v163, v165
	v_xor_b32_e32 v166, s24, v32
	s_mov_b32 s24, exec_lo
	s_delay_alu instid0(VALU_DEP_3) | instskip(NEXT) | instid1(VALU_DEP_3)
	v_cndmask_b32_e64 v165, 0, 1, vcc_lo
	v_and_b32_e32 v163, v163, v164
	s_delay_alu instid0(VALU_DEP_2) | instskip(NEXT) | instid1(VALU_DEP_2)
	v_cmp_ne_u32_e32 vcc_lo, 0, v165
	v_and_b32_e32 v163, v163, v166
	v_xor_b32_e32 v164, vcc_lo, v33
	s_delay_alu instid0(VALU_DEP_1) | instskip(NEXT) | instid1(VALU_DEP_1)
	v_and_b32_e32 v163, v163, v164
	v_mbcnt_lo_u32_b32 v164, v163, 0
	s_delay_alu instid0(VALU_DEP_1)
	v_cmpx_eq_u32_e32 0, v164
	s_cbranch_execz .LBB17_8
; %bb.7:                                ;   in Loop: Header=BB17_2 Depth=1
	v_bcnt_u32_b32 v163, v163, 0
	ds_add_u32 v34, v163
.LBB17_8:                               ;   in Loop: Header=BB17_2 Depth=1
	s_or_b32 exec_lo, exec_lo, s24
	v_readlane_b32 s24, v168, 24
	s_delay_alu instid0(VALU_DEP_1) | instskip(SKIP_1) | instid1(VALU_DEP_2)
	v_cndmask_b32_e64 v163, 0, 1, s24
	v_readlane_b32 s24, v168, 25
	v_cmp_ne_u32_e32 vcc_lo, 0, v163
	s_delay_alu instid0(VALU_DEP_2) | instskip(SKIP_1) | instid1(VALU_DEP_1)
	v_cndmask_b32_e64 v164, 0, 1, s24
	v_readlane_b32 s24, v168, 26
	v_cndmask_b32_e64 v163, 0, 1, s24
	s_delay_alu instid0(VALU_DEP_3) | instskip(SKIP_2) | instid1(VALU_DEP_2)
	v_cmp_ne_u32_e64 s24, 0, v164
	v_xor_b32_e32 v164, vcc_lo, v35
	v_readlane_b32 vcc_lo, v168, 27
	v_and_b32_e32 v164, exec_lo, v164
	s_delay_alu instid0(VALU_DEP_2) | instskip(SKIP_3) | instid1(VALU_DEP_2)
	v_cndmask_b32_e64 v165, 0, 1, vcc_lo
	v_cmp_ne_u32_e32 vcc_lo, 0, v163
	v_xor_b32_e32 v163, s24, v36
	v_readlane_b32 s24, v168, 28
	v_and_b32_e32 v163, v164, v163
	s_delay_alu instid0(VALU_DEP_2) | instskip(SKIP_3) | instid1(VALU_DEP_2)
	v_cndmask_b32_e64 v166, 0, 1, s24
	v_cmp_ne_u32_e64 s24, 0, v165
	v_xor_b32_e32 v165, vcc_lo, v37
	v_readlane_b32 vcc_lo, v168, 29
	v_and_b32_e32 v163, v163, v165
	s_delay_alu instid0(VALU_DEP_2) | instskip(SKIP_3) | instid1(VALU_DEP_2)
	v_cndmask_b32_e64 v164, 0, 1, vcc_lo
	v_cmp_ne_u32_e32 vcc_lo, 0, v166
	v_xor_b32_e32 v166, s24, v38
	v_readlane_b32 s24, v168, 30
	v_and_b32_e32 v163, v163, v166
	s_delay_alu instid0(VALU_DEP_2) | instskip(SKIP_3) | instid1(VALU_DEP_2)
	v_cndmask_b32_e64 v165, 0, 1, s24
	v_cmp_ne_u32_e64 s24, 0, v164
	v_xor_b32_e32 v164, vcc_lo, v39
	v_readlane_b32 vcc_lo, v168, 31
	v_and_b32_e32 v163, v163, v164
	s_delay_alu instid0(VALU_DEP_2) | instskip(SKIP_2) | instid1(VALU_DEP_3)
	v_cndmask_b32_e64 v166, 0, 1, vcc_lo
	v_cmp_ne_u32_e32 vcc_lo, 0, v165
	v_xor_b32_e32 v165, s24, v40
	v_cmp_ne_u32_e64 s24, 0, v166
	v_xor_b32_e32 v164, vcc_lo, v41
	v_readlane_b32 vcc_lo, v167, 0
	s_delay_alu instid0(VALU_DEP_4) | instskip(NEXT) | instid1(VALU_DEP_4)
	v_and_b32_e32 v163, v163, v165
	v_xor_b32_e32 v166, s24, v42
	s_mov_b32 s24, exec_lo
	s_delay_alu instid0(VALU_DEP_3) | instskip(NEXT) | instid1(VALU_DEP_3)
	v_cndmask_b32_e64 v165, 0, 1, vcc_lo
	v_and_b32_e32 v163, v163, v164
	s_delay_alu instid0(VALU_DEP_2) | instskip(NEXT) | instid1(VALU_DEP_2)
	v_cmp_ne_u32_e32 vcc_lo, 0, v165
	v_and_b32_e32 v163, v163, v166
	v_xor_b32_e32 v164, vcc_lo, v43
	s_delay_alu instid0(VALU_DEP_1) | instskip(NEXT) | instid1(VALU_DEP_1)
	v_and_b32_e32 v163, v163, v164
	v_mbcnt_lo_u32_b32 v164, v163, 0
	s_delay_alu instid0(VALU_DEP_1)
	v_cmpx_eq_u32_e32 0, v164
	s_cbranch_execz .LBB17_10
; %bb.9:                                ;   in Loop: Header=BB17_2 Depth=1
	v_bcnt_u32_b32 v163, v163, 0
	ds_add_u32 v44, v163
.LBB17_10:                              ;   in Loop: Header=BB17_2 Depth=1
	s_or_b32 exec_lo, exec_lo, s24
	v_readlane_b32 s24, v167, 1
	s_delay_alu instid0(VALU_DEP_1) | instskip(SKIP_1) | instid1(VALU_DEP_2)
	v_cndmask_b32_e64 v163, 0, 1, s24
	v_readlane_b32 s24, v167, 2
	v_cmp_ne_u32_e32 vcc_lo, 0, v163
	s_delay_alu instid0(VALU_DEP_2) | instskip(SKIP_1) | instid1(VALU_DEP_1)
	v_cndmask_b32_e64 v164, 0, 1, s24
	v_readlane_b32 s24, v167, 3
	v_cndmask_b32_e64 v163, 0, 1, s24
	s_delay_alu instid0(VALU_DEP_3) | instskip(SKIP_2) | instid1(VALU_DEP_2)
	v_cmp_ne_u32_e64 s24, 0, v164
	v_xor_b32_e32 v164, vcc_lo, v45
	v_readlane_b32 vcc_lo, v167, 4
	v_and_b32_e32 v164, exec_lo, v164
	s_delay_alu instid0(VALU_DEP_2) | instskip(SKIP_3) | instid1(VALU_DEP_2)
	v_cndmask_b32_e64 v165, 0, 1, vcc_lo
	v_cmp_ne_u32_e32 vcc_lo, 0, v163
	v_xor_b32_e32 v163, s24, v46
	v_readlane_b32 s24, v167, 5
	v_and_b32_e32 v163, v164, v163
	s_delay_alu instid0(VALU_DEP_2) | instskip(SKIP_3) | instid1(VALU_DEP_2)
	v_cndmask_b32_e64 v166, 0, 1, s24
	v_cmp_ne_u32_e64 s24, 0, v165
	v_xor_b32_e32 v165, vcc_lo, v47
	v_readlane_b32 vcc_lo, v167, 6
	v_and_b32_e32 v163, v163, v165
	s_delay_alu instid0(VALU_DEP_2) | instskip(SKIP_3) | instid1(VALU_DEP_2)
	v_cndmask_b32_e64 v164, 0, 1, vcc_lo
	v_cmp_ne_u32_e32 vcc_lo, 0, v166
	v_xor_b32_e32 v166, s24, v48
	v_readlane_b32 s24, v167, 7
	v_and_b32_e32 v163, v163, v166
	s_delay_alu instid0(VALU_DEP_2) | instskip(SKIP_3) | instid1(VALU_DEP_2)
	v_cndmask_b32_e64 v165, 0, 1, s24
	v_cmp_ne_u32_e64 s24, 0, v164
	v_xor_b32_e32 v164, vcc_lo, v49
	v_readlane_b32 vcc_lo, v167, 8
	v_and_b32_e32 v163, v163, v164
	s_delay_alu instid0(VALU_DEP_2) | instskip(SKIP_2) | instid1(VALU_DEP_3)
	v_cndmask_b32_e64 v166, 0, 1, vcc_lo
	v_cmp_ne_u32_e32 vcc_lo, 0, v165
	v_xor_b32_e32 v165, s24, v50
	v_cmp_ne_u32_e64 s24, 0, v166
	v_xor_b32_e32 v164, vcc_lo, v51
	v_readlane_b32 vcc_lo, v167, 9
	s_delay_alu instid0(VALU_DEP_4) | instskip(NEXT) | instid1(VALU_DEP_4)
	v_and_b32_e32 v163, v163, v165
	v_xor_b32_e32 v166, s24, v52
	s_mov_b32 s24, exec_lo
	s_delay_alu instid0(VALU_DEP_3) | instskip(NEXT) | instid1(VALU_DEP_3)
	v_cndmask_b32_e64 v165, 0, 1, vcc_lo
	v_and_b32_e32 v163, v163, v164
	s_delay_alu instid0(VALU_DEP_2) | instskip(NEXT) | instid1(VALU_DEP_2)
	v_cmp_ne_u32_e32 vcc_lo, 0, v165
	v_and_b32_e32 v163, v163, v166
	v_xor_b32_e32 v164, vcc_lo, v53
	s_delay_alu instid0(VALU_DEP_1) | instskip(NEXT) | instid1(VALU_DEP_1)
	v_and_b32_e32 v163, v163, v164
	v_mbcnt_lo_u32_b32 v164, v163, 0
	s_delay_alu instid0(VALU_DEP_1)
	v_cmpx_eq_u32_e32 0, v164
	s_cbranch_execz .LBB17_12
; %bb.11:                               ;   in Loop: Header=BB17_2 Depth=1
	v_bcnt_u32_b32 v163, v163, 0
	ds_add_u32 v54, v163
.LBB17_12:                              ;   in Loop: Header=BB17_2 Depth=1
	s_or_b32 exec_lo, exec_lo, s24
	v_readlane_b32 s24, v167, 10
	s_delay_alu instid0(VALU_DEP_1) | instskip(SKIP_1) | instid1(VALU_DEP_2)
	v_cndmask_b32_e64 v163, 0, 1, s24
	v_readlane_b32 s24, v167, 11
	v_cmp_ne_u32_e32 vcc_lo, 0, v163
	s_delay_alu instid0(VALU_DEP_2) | instskip(SKIP_1) | instid1(VALU_DEP_1)
	v_cndmask_b32_e64 v164, 0, 1, s24
	v_readlane_b32 s24, v167, 12
	v_cndmask_b32_e64 v163, 0, 1, s24
	s_delay_alu instid0(VALU_DEP_3) | instskip(SKIP_2) | instid1(VALU_DEP_2)
	v_cmp_ne_u32_e64 s24, 0, v164
	v_xor_b32_e32 v164, vcc_lo, v55
	v_readlane_b32 vcc_lo, v167, 13
	v_and_b32_e32 v164, exec_lo, v164
	s_delay_alu instid0(VALU_DEP_2) | instskip(SKIP_3) | instid1(VALU_DEP_2)
	v_cndmask_b32_e64 v165, 0, 1, vcc_lo
	v_cmp_ne_u32_e32 vcc_lo, 0, v163
	v_xor_b32_e32 v163, s24, v56
	v_readlane_b32 s24, v167, 14
	v_and_b32_e32 v163, v164, v163
	s_delay_alu instid0(VALU_DEP_2) | instskip(SKIP_3) | instid1(VALU_DEP_4)
	v_cndmask_b32_e64 v166, 0, 1, s24
	v_cmp_ne_u32_e64 s24, 0, v165
	v_xor_b32_e32 v165, vcc_lo, v57
	v_cndmask_b32_e64 v164, 0, 1, s38
	v_cmp_ne_u32_e32 vcc_lo, 0, v166
	s_delay_alu instid0(VALU_DEP_4) | instskip(NEXT) | instid1(VALU_DEP_4)
	v_xor_b32_e32 v166, s24, v58
	v_and_b32_e32 v163, v163, v165
	v_cndmask_b32_e64 v165, 0, 1, s39
	v_cmp_ne_u32_e64 s24, 0, v164
	v_xor_b32_e32 v164, vcc_lo, v59
	s_delay_alu instid0(VALU_DEP_4) | instskip(SKIP_3) | instid1(VALU_DEP_4)
	v_and_b32_e32 v163, v163, v166
	v_cndmask_b32_e64 v166, 0, 1, s40
	v_cmp_ne_u32_e32 vcc_lo, 0, v165
	v_xor_b32_e32 v165, s24, v60
	v_and_b32_e32 v163, v163, v164
	s_delay_alu instid0(VALU_DEP_4) | instskip(SKIP_1) | instid1(VALU_DEP_3)
	v_cmp_ne_u32_e64 s24, 0, v166
	v_xor_b32_e32 v164, vcc_lo, v61
	v_and_b32_e32 v163, v163, v165
	v_cndmask_b32_e64 v165, 0, 1, s41
	s_delay_alu instid0(VALU_DEP_4) | instskip(SKIP_1) | instid1(VALU_DEP_3)
	v_xor_b32_e32 v166, s24, v62
	s_mov_b32 s24, exec_lo
	v_and_b32_e32 v163, v163, v164
	s_delay_alu instid0(VALU_DEP_3) | instskip(NEXT) | instid1(VALU_DEP_2)
	v_cmp_ne_u32_e32 vcc_lo, 0, v165
	v_and_b32_e32 v163, v163, v166
	v_xor_b32_e32 v164, vcc_lo, v63
	s_delay_alu instid0(VALU_DEP_1) | instskip(NEXT) | instid1(VALU_DEP_1)
	v_and_b32_e32 v163, v163, v164
	v_mbcnt_lo_u32_b32 v164, v163, 0
	s_delay_alu instid0(VALU_DEP_1)
	v_cmpx_eq_u32_e32 0, v164
	s_cbranch_execz .LBB17_14
; %bb.13:                               ;   in Loop: Header=BB17_2 Depth=1
	v_bcnt_u32_b32 v163, v163, 0
	ds_add_u32 v9, v163
.LBB17_14:                              ;   in Loop: Header=BB17_2 Depth=1
	s_or_b32 exec_lo, exec_lo, s24
	v_cndmask_b32_e64 v163, 0, 1, s26
	v_cndmask_b32_e64 v164, 0, 1, s42
	v_cndmask_b32_e64 v165, 0, 1, s44
	v_cndmask_b32_e64 v166, 0, 1, s45
	s_delay_alu instid0(VALU_DEP_4) | instskip(SKIP_3) | instid1(VALU_DEP_3)
	v_cmp_ne_u32_e32 vcc_lo, 0, v163
	v_cndmask_b32_e64 v163, 0, 1, s43
	v_cmp_ne_u32_e64 s24, 0, v164
	v_xor_b32_e32 v164, vcc_lo, v64
	v_cmp_ne_u32_e32 vcc_lo, 0, v163
	s_delay_alu instid0(VALU_DEP_3) | instskip(SKIP_1) | instid1(VALU_DEP_4)
	v_xor_b32_e32 v163, s24, v65
	v_cmp_ne_u32_e64 s24, 0, v165
	v_and_b32_e32 v164, exec_lo, v164
	v_xor_b32_e32 v165, vcc_lo, v66
	v_cmp_ne_u32_e32 vcc_lo, 0, v166
	s_delay_alu instid0(VALU_DEP_4) | instskip(NEXT) | instid1(VALU_DEP_4)
	v_xor_b32_e32 v166, s24, v67
	v_and_b32_e32 v163, v164, v163
	v_cndmask_b32_e64 v164, 0, 1, s46
	s_delay_alu instid0(VALU_DEP_2) | instskip(SKIP_1) | instid1(VALU_DEP_3)
	v_and_b32_e32 v163, v163, v165
	v_cndmask_b32_e64 v165, 0, 1, s47
	v_cmp_ne_u32_e64 s24, 0, v164
	v_xor_b32_e32 v164, vcc_lo, v68
	s_delay_alu instid0(VALU_DEP_4) | instskip(SKIP_3) | instid1(VALU_DEP_4)
	v_and_b32_e32 v163, v163, v166
	v_cndmask_b32_e64 v166, 0, 1, s48
	v_cmp_ne_u32_e32 vcc_lo, 0, v165
	v_xor_b32_e32 v165, s24, v69
	v_and_b32_e32 v163, v163, v164
	s_delay_alu instid0(VALU_DEP_4) | instskip(SKIP_1) | instid1(VALU_DEP_3)
	v_cmp_ne_u32_e64 s24, 0, v166
	v_xor_b32_e32 v164, vcc_lo, v70
	v_and_b32_e32 v163, v163, v165
	v_cndmask_b32_e64 v165, 0, 1, s49
	s_delay_alu instid0(VALU_DEP_4) | instskip(SKIP_1) | instid1(VALU_DEP_3)
	v_xor_b32_e32 v166, s24, v71
	s_mov_b32 s24, exec_lo
	v_and_b32_e32 v163, v163, v164
	s_delay_alu instid0(VALU_DEP_3) | instskip(NEXT) | instid1(VALU_DEP_2)
	v_cmp_ne_u32_e32 vcc_lo, 0, v165
	v_and_b32_e32 v163, v163, v166
	v_xor_b32_e32 v164, vcc_lo, v72
	s_delay_alu instid0(VALU_DEP_1) | instskip(NEXT) | instid1(VALU_DEP_1)
	v_and_b32_e32 v163, v163, v164
	v_mbcnt_lo_u32_b32 v164, v163, 0
	s_delay_alu instid0(VALU_DEP_1)
	v_cmpx_eq_u32_e32 0, v164
	s_cbranch_execz .LBB17_16
; %bb.15:                               ;   in Loop: Header=BB17_2 Depth=1
	v_bcnt_u32_b32 v163, v163, 0
	ds_add_u32 v10, v163
.LBB17_16:                              ;   in Loop: Header=BB17_2 Depth=1
	s_or_b32 exec_lo, exec_lo, s24
	v_cndmask_b32_e64 v163, 0, 1, s27
	v_cndmask_b32_e64 v164, 0, 1, s50
	v_cndmask_b32_e64 v165, 0, 1, s52
	v_cndmask_b32_e64 v166, 0, 1, s53
	s_delay_alu instid0(VALU_DEP_4) | instskip(SKIP_3) | instid1(VALU_DEP_3)
	v_cmp_ne_u32_e32 vcc_lo, 0, v163
	v_cndmask_b32_e64 v163, 0, 1, s51
	v_cmp_ne_u32_e64 s24, 0, v164
	v_xor_b32_e32 v164, vcc_lo, v73
	v_cmp_ne_u32_e32 vcc_lo, 0, v163
	s_delay_alu instid0(VALU_DEP_3) | instskip(SKIP_1) | instid1(VALU_DEP_4)
	v_xor_b32_e32 v163, s24, v74
	v_cmp_ne_u32_e64 s24, 0, v165
	v_and_b32_e32 v164, exec_lo, v164
	v_xor_b32_e32 v165, vcc_lo, v75
	v_cmp_ne_u32_e32 vcc_lo, 0, v166
	s_delay_alu instid0(VALU_DEP_4) | instskip(NEXT) | instid1(VALU_DEP_4)
	v_xor_b32_e32 v166, s24, v76
	v_and_b32_e32 v163, v164, v163
	v_cndmask_b32_e64 v164, 0, 1, s54
	s_delay_alu instid0(VALU_DEP_2) | instskip(SKIP_1) | instid1(VALU_DEP_3)
	;; [unrolled: 55-line block ×8, first 2 shown]
	v_and_b32_e32 v163, v163, v165
	v_cndmask_b32_e64 v165, 0, 1, s103
	v_cmp_ne_u32_e64 s24, 0, v164
	v_xor_b32_e32 v164, vcc_lo, v131
	s_delay_alu instid0(VALU_DEP_4) | instskip(SKIP_3) | instid1(VALU_DEP_4)
	v_and_b32_e32 v163, v163, v166
	v_cndmask_b32_e64 v166, 0, 1, s104
	v_cmp_ne_u32_e32 vcc_lo, 0, v165
	v_xor_b32_e32 v165, s24, v132
	v_and_b32_e32 v163, v163, v164
	s_delay_alu instid0(VALU_DEP_4) | instskip(SKIP_1) | instid1(VALU_DEP_3)
	v_cmp_ne_u32_e64 s24, 0, v166
	v_xor_b32_e32 v164, vcc_lo, v133
	v_and_b32_e32 v163, v163, v165
	v_cndmask_b32_e64 v165, 0, 1, vcc_hi
	s_delay_alu instid0(VALU_DEP_4) | instskip(SKIP_1) | instid1(VALU_DEP_3)
	v_xor_b32_e32 v166, s24, v134
	s_mov_b32 s24, exec_lo
	v_and_b32_e32 v163, v163, v164
	s_delay_alu instid0(VALU_DEP_3) | instskip(NEXT) | instid1(VALU_DEP_2)
	v_cmp_ne_u32_e32 vcc_lo, 0, v165
	v_and_b32_e32 v163, v163, v166
	v_xor_b32_e32 v164, vcc_lo, v135
	s_delay_alu instid0(VALU_DEP_1) | instskip(NEXT) | instid1(VALU_DEP_1)
	v_and_b32_e32 v163, v163, v164
	v_mbcnt_lo_u32_b32 v164, v163, 0
	s_delay_alu instid0(VALU_DEP_1)
	v_cmpx_eq_u32_e32 0, v164
	s_cbranch_execz .LBB17_30
; %bb.29:                               ;   in Loop: Header=BB17_2 Depth=1
	v_bcnt_u32_b32 v163, v163, 0
	ds_add_u32 v1, v163
.LBB17_30:                              ;   in Loop: Header=BB17_2 Depth=1
	s_or_b32 exec_lo, exec_lo, s24
	v_cndmask_b32_e64 v163, 0, 1, s34
	v_cndmask_b32_e64 v164, 0, 1, s15
	v_cndmask_b32_e64 v165, 0, 1, s2
	v_cndmask_b32_e64 v166, 0, 1, s3
	s_delay_alu instid0(VALU_DEP_4) | instskip(SKIP_3) | instid1(VALU_DEP_3)
	v_cmp_ne_u32_e32 vcc_lo, 0, v163
	v_cndmask_b32_e64 v163, 0, 1, s1
	v_cmp_ne_u32_e64 s24, 0, v164
	v_xor_b32_e32 v164, vcc_lo, v136
	v_cmp_ne_u32_e32 vcc_lo, 0, v163
	s_delay_alu instid0(VALU_DEP_3) | instskip(SKIP_1) | instid1(VALU_DEP_4)
	v_xor_b32_e32 v163, s24, v137
	v_cmp_ne_u32_e64 s24, 0, v165
	v_and_b32_e32 v164, exec_lo, v164
	v_xor_b32_e32 v165, vcc_lo, v138
	v_cmp_ne_u32_e32 vcc_lo, 0, v166
	s_delay_alu instid0(VALU_DEP_4) | instskip(NEXT) | instid1(VALU_DEP_4)
	v_xor_b32_e32 v166, s24, v139
	v_and_b32_e32 v163, v164, v163
	v_cndmask_b32_e64 v164, 0, 1, s4
	s_delay_alu instid0(VALU_DEP_2) | instskip(SKIP_1) | instid1(VALU_DEP_3)
	v_and_b32_e32 v163, v163, v165
	v_cndmask_b32_e64 v165, 0, 1, s5
	v_cmp_ne_u32_e64 s24, 0, v164
	v_xor_b32_e32 v164, vcc_lo, v140
	s_delay_alu instid0(VALU_DEP_4) | instskip(SKIP_3) | instid1(VALU_DEP_4)
	v_and_b32_e32 v163, v163, v166
	v_cndmask_b32_e64 v166, 0, 1, s6
	v_cmp_ne_u32_e32 vcc_lo, 0, v165
	v_xor_b32_e32 v165, s24, v141
	v_and_b32_e32 v163, v163, v164
	s_delay_alu instid0(VALU_DEP_4) | instskip(SKIP_1) | instid1(VALU_DEP_3)
	v_cmp_ne_u32_e64 s24, 0, v166
	v_xor_b32_e32 v164, vcc_lo, v142
	v_and_b32_e32 v163, v163, v165
	v_cndmask_b32_e64 v165, 0, 1, s7
	s_delay_alu instid0(VALU_DEP_4) | instskip(SKIP_1) | instid1(VALU_DEP_3)
	v_xor_b32_e32 v166, s24, v143
	s_mov_b32 s24, exec_lo
	v_and_b32_e32 v163, v163, v164
	s_delay_alu instid0(VALU_DEP_3) | instskip(NEXT) | instid1(VALU_DEP_2)
	v_cmp_ne_u32_e32 vcc_lo, 0, v165
	v_and_b32_e32 v163, v163, v166
	v_xor_b32_e32 v164, vcc_lo, v144
	s_delay_alu instid0(VALU_DEP_1) | instskip(NEXT) | instid1(VALU_DEP_1)
	v_and_b32_e32 v163, v163, v164
	v_mbcnt_lo_u32_b32 v164, v163, 0
	s_delay_alu instid0(VALU_DEP_1)
	v_cmpx_eq_u32_e32 0, v164
	s_cbranch_execz .LBB17_32
; %bb.31:                               ;   in Loop: Header=BB17_2 Depth=1
	v_bcnt_u32_b32 v163, v163, 0
	ds_add_u32 v2, v163
.LBB17_32:                              ;   in Loop: Header=BB17_2 Depth=1
	s_or_b32 exec_lo, exec_lo, s24
	v_cndmask_b32_e64 v163, 0, 1, s35
	v_cndmask_b32_e64 v164, 0, 1, s0
	v_cndmask_b32_e64 v165, 0, 1, s9
	v_cndmask_b32_e64 v166, 0, 1, s10
	s_delay_alu instid0(VALU_DEP_4) | instskip(SKIP_3) | instid1(VALU_DEP_3)
	v_cmp_ne_u32_e32 vcc_lo, 0, v163
	v_cndmask_b32_e64 v163, 0, 1, s8
	v_cmp_ne_u32_e64 s24, 0, v164
	v_xor_b32_e32 v164, vcc_lo, v145
	v_cmp_ne_u32_e32 vcc_lo, 0, v163
	s_delay_alu instid0(VALU_DEP_3) | instskip(SKIP_1) | instid1(VALU_DEP_4)
	v_xor_b32_e32 v163, s24, v146
	v_cmp_ne_u32_e64 s24, 0, v165
	v_and_b32_e32 v164, exec_lo, v164
	v_xor_b32_e32 v165, vcc_lo, v147
	v_cmp_ne_u32_e32 vcc_lo, 0, v166
	s_delay_alu instid0(VALU_DEP_4) | instskip(NEXT) | instid1(VALU_DEP_4)
	v_xor_b32_e32 v166, s24, v148
	v_and_b32_e32 v163, v164, v163
	v_cndmask_b32_e64 v164, 0, 1, s11
	s_delay_alu instid0(VALU_DEP_2) | instskip(SKIP_1) | instid1(VALU_DEP_3)
	v_and_b32_e32 v163, v163, v165
	v_cndmask_b32_e64 v165, 0, 1, s12
	v_cmp_ne_u32_e64 s24, 0, v164
	v_xor_b32_e32 v164, vcc_lo, v149
	s_delay_alu instid0(VALU_DEP_4) | instskip(SKIP_3) | instid1(VALU_DEP_4)
	v_and_b32_e32 v163, v163, v166
	v_cndmask_b32_e64 v166, 0, 1, s13
	v_cmp_ne_u32_e32 vcc_lo, 0, v165
	v_xor_b32_e32 v165, s24, v150
	v_and_b32_e32 v163, v163, v164
	s_delay_alu instid0(VALU_DEP_4) | instskip(SKIP_1) | instid1(VALU_DEP_3)
	v_cmp_ne_u32_e64 s24, 0, v166
	v_xor_b32_e32 v164, vcc_lo, v151
	v_and_b32_e32 v163, v163, v165
	v_cndmask_b32_e64 v165, 0, 1, s14
	;; [unrolled: 55-line block ×3, first 2 shown]
	s_delay_alu instid0(VALU_DEP_4) | instskip(SKIP_1) | instid1(VALU_DEP_3)
	v_xor_b32_e32 v166, s24, v161
	s_mov_b32 s24, exec_lo
	v_and_b32_e32 v163, v163, v164
	s_delay_alu instid0(VALU_DEP_3) | instskip(NEXT) | instid1(VALU_DEP_2)
	v_cmp_ne_u32_e32 vcc_lo, 0, v165
	v_and_b32_e32 v163, v163, v166
	v_xor_b32_e32 v164, vcc_lo, v162
	s_delay_alu instid0(VALU_DEP_1) | instskip(NEXT) | instid1(VALU_DEP_1)
	v_and_b32_e32 v163, v163, v164
	v_mbcnt_lo_u32_b32 v164, v163, 0
	s_delay_alu instid0(VALU_DEP_1)
	v_cmpx_eq_u32_e32 0, v164
	s_cbranch_execz .LBB17_1
; %bb.35:                               ;   in Loop: Header=BB17_2 Depth=1
	v_bcnt_u32_b32 v163, v163, 0
	ds_add_u32 v4, v163
	s_branch .LBB17_1
.LBB17_36:
	v_readlane_b32 s1, v168, 5
	s_delay_alu instid0(VALU_DEP_1)
	s_and_saveexec_b32 s0, s1
	s_cbranch_execz .LBB17_38
; %bb.37:
	v_readlane_b32 s0, v168, 0
	ds_load_b32 v2, v14
	v_mov_b32_e32 v1, 0
	v_lshl_or_b32 v0, s0, 9, v0
	v_readlane_b32 s0, v168, 1
	v_readlane_b32 s2, v168, 3
	;; [unrolled: 1-line block ×4, first 2 shown]
	v_lshlrev_b64 v[0:1], 2, v[0:1]
	s_delay_alu instid0(VALU_DEP_1) | instskip(NEXT) | instid1(VALU_DEP_2)
	v_add_co_u32 v0, vcc_lo, s2, v0
	v_add_co_ci_u32_e32 v1, vcc_lo, s3, v1, vcc_lo
	s_waitcnt lgkmcnt(0)
	global_store_b32 v[0:1], v2, off
.LBB17_38:
	s_nop 0
	s_sendmsg sendmsg(MSG_DEALLOC_VGPRS)
	s_endpgm
	.section	.rodata,"a",@progbits
	.p2align	6, 0x0
	.amdhsa_kernel _Z6kernelI9histogramILN6hipcub23BlockHistogramAlgorithmE0EEiLj512ELj16ELj512ELj100EEvPKT0_PS4_
		.amdhsa_group_segment_fixed_size 2048
		.amdhsa_private_segment_fixed_size 0
		.amdhsa_kernarg_size 16
		.amdhsa_user_sgpr_count 15
		.amdhsa_user_sgpr_dispatch_ptr 0
		.amdhsa_user_sgpr_queue_ptr 0
		.amdhsa_user_sgpr_kernarg_segment_ptr 1
		.amdhsa_user_sgpr_dispatch_id 0
		.amdhsa_user_sgpr_private_segment_size 0
		.amdhsa_wavefront_size32 1
		.amdhsa_uses_dynamic_stack 0
		.amdhsa_enable_private_segment 0
		.amdhsa_system_sgpr_workgroup_id_x 1
		.amdhsa_system_sgpr_workgroup_id_y 0
		.amdhsa_system_sgpr_workgroup_id_z 0
		.amdhsa_system_sgpr_workgroup_info 0
		.amdhsa_system_vgpr_workitem_id 0
		.amdhsa_next_free_vgpr 169
		.amdhsa_next_free_sgpr 105
		.amdhsa_reserve_vcc 1
		.amdhsa_float_round_mode_32 0
		.amdhsa_float_round_mode_16_64 0
		.amdhsa_float_denorm_mode_32 3
		.amdhsa_float_denorm_mode_16_64 3
		.amdhsa_dx10_clamp 1
		.amdhsa_ieee_mode 1
		.amdhsa_fp16_overflow 0
		.amdhsa_workgroup_processor_mode 1
		.amdhsa_memory_ordered 1
		.amdhsa_forward_progress 0
		.amdhsa_shared_vgpr_count 0
		.amdhsa_exception_fp_ieee_invalid_op 0
		.amdhsa_exception_fp_denorm_src 0
		.amdhsa_exception_fp_ieee_div_zero 0
		.amdhsa_exception_fp_ieee_overflow 0
		.amdhsa_exception_fp_ieee_underflow 0
		.amdhsa_exception_fp_ieee_inexact 0
		.amdhsa_exception_int_div_zero 0
	.end_amdhsa_kernel
	.section	.text._Z6kernelI9histogramILN6hipcub23BlockHistogramAlgorithmE0EEiLj512ELj16ELj512ELj100EEvPKT0_PS4_,"axG",@progbits,_Z6kernelI9histogramILN6hipcub23BlockHistogramAlgorithmE0EEiLj512ELj16ELj512ELj100EEvPKT0_PS4_,comdat
.Lfunc_end17:
	.size	_Z6kernelI9histogramILN6hipcub23BlockHistogramAlgorithmE0EEiLj512ELj16ELj512ELj100EEvPKT0_PS4_, .Lfunc_end17-_Z6kernelI9histogramILN6hipcub23BlockHistogramAlgorithmE0EEiLj512ELj16ELj512ELj100EEvPKT0_PS4_
                                        ; -- End function
	.section	.AMDGPU.csdata,"",@progbits
; Kernel info:
; codeLenInByte = 8344
; NumSgprs: 107
; NumVgprs: 169
; ScratchSize: 0
; MemoryBound: 0
; FloatMode: 240
; IeeeMode: 1
; LDSByteSize: 2048 bytes/workgroup (compile time only)
; SGPRBlocks: 13
; VGPRBlocks: 21
; NumSGPRsForWavesPerEU: 107
; NumVGPRsForWavesPerEU: 169
; Occupancy: 8
; WaveLimiterHint : 0
; COMPUTE_PGM_RSRC2:SCRATCH_EN: 0
; COMPUTE_PGM_RSRC2:USER_SGPR: 15
; COMPUTE_PGM_RSRC2:TRAP_HANDLER: 0
; COMPUTE_PGM_RSRC2:TGID_X_EN: 1
; COMPUTE_PGM_RSRC2:TGID_Y_EN: 0
; COMPUTE_PGM_RSRC2:TGID_Z_EN: 0
; COMPUTE_PGM_RSRC2:TIDIG_COMP_CNT: 0
	.section	.text._Z6kernelI9histogramILN6hipcub23BlockHistogramAlgorithmE0EEyLj256ELj1ELj256ELj100EEvPKT0_PS4_,"axG",@progbits,_Z6kernelI9histogramILN6hipcub23BlockHistogramAlgorithmE0EEyLj256ELj1ELj256ELj100EEvPKT0_PS4_,comdat
	.protected	_Z6kernelI9histogramILN6hipcub23BlockHistogramAlgorithmE0EEyLj256ELj1ELj256ELj100EEvPKT0_PS4_ ; -- Begin function _Z6kernelI9histogramILN6hipcub23BlockHistogramAlgorithmE0EEyLj256ELj1ELj256ELj100EEvPKT0_PS4_
	.globl	_Z6kernelI9histogramILN6hipcub23BlockHistogramAlgorithmE0EEyLj256ELj1ELj256ELj100EEvPKT0_PS4_
	.p2align	8
	.type	_Z6kernelI9histogramILN6hipcub23BlockHistogramAlgorithmE0EEyLj256ELj1ELj256ELj100EEvPKT0_PS4_,@function
_Z6kernelI9histogramILN6hipcub23BlockHistogramAlgorithmE0EEyLj256ELj1ELj256ELj100EEvPKT0_PS4_: ; @_Z6kernelI9histogramILN6hipcub23BlockHistogramAlgorithmE0EEyLj256ELj1ELj256ELj100EEvPKT0_PS4_
; %bb.0:
	s_load_b128 s[0:3], s[0:1], 0x0
	v_mov_b32_e32 v3, 0
	s_lshl_b32 s4, s15, 8
	s_delay_alu instid0(SALU_CYCLE_1) | instskip(SKIP_1) | instid1(VALU_DEP_2)
	v_or_b32_e32 v1, s4, v0
	s_movk_i32 s4, 0x64
	v_mov_b32_e32 v2, v3
	s_delay_alu instid0(VALU_DEP_1) | instskip(SKIP_1) | instid1(VALU_DEP_1)
	v_lshlrev_b64 v[4:5], 3, v[1:2]
	s_waitcnt lgkmcnt(0)
	v_add_co_u32 v4, vcc_lo, s0, v4
	s_delay_alu instid0(VALU_DEP_2)
	v_add_co_ci_u32_e32 v5, vcc_lo, s1, v5, vcc_lo
	v_cmp_gt_u32_e32 vcc_lo, 0x100, v0
	v_lshlrev_b32_e32 v0, 3, v0
	global_load_b32 v2, v[4:5], off
	s_waitcnt vmcnt(0)
	v_and_b32_e32 v4, 1, v2
	v_lshlrev_b32_e32 v7, 30, v2
	v_lshlrev_b32_e32 v8, 29, v2
	;; [unrolled: 1-line block ×4, first 2 shown]
	v_add_co_u32 v5, s0, v4, -1
	s_delay_alu instid0(VALU_DEP_1)
	v_cndmask_b32_e64 v6, 0, 1, s0
	v_cmp_gt_i32_e64 s0, 0, v7
	v_not_b32_e32 v13, v7
	v_not_b32_e32 v14, v8
	v_lshlrev_b32_e32 v11, 26, v2
	v_not_b32_e32 v15, v9
	v_cndmask_b32_e64 v7, 0, 1, s0
	v_cmp_gt_i32_e64 s0, 0, v8
	v_lshlrev_b32_e32 v12, 25, v2
	v_not_b32_e32 v16, v10
	v_lshlrev_b32_e32 v20, 24, v2
	v_not_b32_e32 v17, v11
	v_cndmask_b32_e64 v8, 0, 1, s0
	v_cmp_gt_i32_e64 s0, 0, v9
	v_not_b32_e32 v18, v12
	v_not_b32_e32 v19, v20
	v_lshlrev_b32_e32 v2, 3, v2
	v_ashrrev_i32_e32 v13, 31, v13
	v_cndmask_b32_e64 v9, 0, 1, s0
	v_cmp_gt_i32_e64 s0, 0, v10
	v_ashrrev_i32_e32 v14, 31, v14
	v_ashrrev_i32_e32 v15, 31, v15
	v_ashrrev_i32_e32 v16, 31, v16
	v_ashrrev_i32_e32 v17, 31, v17
	v_cndmask_b32_e64 v10, 0, 1, s0
	v_cmp_gt_i32_e64 s0, 0, v11
	v_ashrrev_i32_e32 v18, 31, v18
	v_ashrrev_i32_e32 v19, 31, v19
	s_delay_alu instid0(VALU_DEP_3) | instskip(SKIP_1) | instid1(VALU_DEP_1)
	v_cndmask_b32_e64 v11, 0, 1, s0
	v_cmp_gt_i32_e64 s0, 0, v12
	v_cndmask_b32_e64 v12, 0, 1, s0
	v_cmp_gt_i32_e64 s0, 0, v20
	s_delay_alu instid0(VALU_DEP_1)
	v_cndmask_b32_e64 v20, 0, 1, s0
	s_branch .LBB18_2
.LBB18_1:                               ;   in Loop: Header=BB18_2 Depth=1
	s_or_b32 exec_lo, exec_lo, s1
	s_add_i32 s4, s4, -1
	s_waitcnt lgkmcnt(0)
	s_cmp_eq_u32 s4, 0
	s_barrier
	buffer_gl0_inv
	s_cbranch_scc1 .LBB18_6
.LBB18_2:                               ; =>This Inner Loop Header: Depth=1
	s_and_saveexec_b32 s0, vcc_lo
	s_cbranch_execz .LBB18_4
; %bb.3:                                ;   in Loop: Header=BB18_2 Depth=1
	v_mov_b32_e32 v4, v3
	ds_store_b64 v0, v[3:4]
.LBB18_4:                               ;   in Loop: Header=BB18_2 Depth=1
	s_or_b32 exec_lo, exec_lo, s0
	v_cmp_ne_u32_e64 s0, 0, v6
	v_cmp_ne_u32_e64 s1, 0, v7
	s_waitcnt lgkmcnt(0)
	s_barrier
	buffer_gl0_inv
	v_xor_b32_e32 v4, s0, v5
	v_cmp_ne_u32_e64 s0, 0, v8
	v_xor_b32_e32 v21, s1, v13
	v_cmp_ne_u32_e64 s1, 0, v9
	s_delay_alu instid0(VALU_DEP_4) | instskip(NEXT) | instid1(VALU_DEP_4)
	v_and_b32_e32 v4, exec_lo, v4
	v_xor_b32_e32 v22, s0, v14
	v_cmp_ne_u32_e64 s0, 0, v10
	s_delay_alu instid0(VALU_DEP_3) | instskip(SKIP_2) | instid1(VALU_DEP_3)
	v_and_b32_e32 v4, v4, v21
	v_xor_b32_e32 v21, s1, v15
	v_cmp_ne_u32_e64 s1, 0, v11
	v_and_b32_e32 v4, v4, v22
	v_xor_b32_e32 v22, s0, v16
	v_cmp_ne_u32_e64 s0, 0, v12
	s_delay_alu instid0(VALU_DEP_3) | instskip(SKIP_2) | instid1(VALU_DEP_2)
	v_and_b32_e32 v4, v4, v21
	v_xor_b32_e32 v21, s1, v17
	s_mov_b32 s1, exec_lo
	v_and_b32_e32 v4, v4, v22
	v_xor_b32_e32 v22, s0, v18
	v_cmp_ne_u32_e64 s0, 0, v20
	s_delay_alu instid0(VALU_DEP_3) | instskip(NEXT) | instid1(VALU_DEP_2)
	v_and_b32_e32 v4, v4, v21
	v_xor_b32_e32 v21, s0, v19
	s_delay_alu instid0(VALU_DEP_2) | instskip(NEXT) | instid1(VALU_DEP_1)
	v_and_b32_e32 v4, v4, v22
	v_and_b32_e32 v4, v4, v21
	s_delay_alu instid0(VALU_DEP_1) | instskip(NEXT) | instid1(VALU_DEP_1)
	v_mbcnt_lo_u32_b32 v21, v4, 0
	v_cmpx_eq_u32_e32 0, v21
	s_cbranch_execz .LBB18_1
; %bb.5:                                ;   in Loop: Header=BB18_2 Depth=1
	v_bcnt_u32_b32 v21, v4, 0
	v_mov_b32_e32 v22, v3
	ds_add_u64 v2, v[21:22]
	s_branch .LBB18_1
.LBB18_6:
	s_and_saveexec_b32 s0, vcc_lo
	s_cbranch_execz .LBB18_8
; %bb.7:
	ds_load_b64 v[3:4], v0
	v_mov_b32_e32 v2, 0
	s_delay_alu instid0(VALU_DEP_1) | instskip(NEXT) | instid1(VALU_DEP_1)
	v_lshlrev_b64 v[0:1], 3, v[1:2]
	v_add_co_u32 v0, vcc_lo, s2, v0
	s_delay_alu instid0(VALU_DEP_2)
	v_add_co_ci_u32_e32 v1, vcc_lo, s3, v1, vcc_lo
	s_waitcnt lgkmcnt(0)
	global_store_b64 v[0:1], v[3:4], off
.LBB18_8:
	s_nop 0
	s_sendmsg sendmsg(MSG_DEALLOC_VGPRS)
	s_endpgm
	.section	.rodata,"a",@progbits
	.p2align	6, 0x0
	.amdhsa_kernel _Z6kernelI9histogramILN6hipcub23BlockHistogramAlgorithmE0EEyLj256ELj1ELj256ELj100EEvPKT0_PS4_
		.amdhsa_group_segment_fixed_size 2048
		.amdhsa_private_segment_fixed_size 0
		.amdhsa_kernarg_size 16
		.amdhsa_user_sgpr_count 15
		.amdhsa_user_sgpr_dispatch_ptr 0
		.amdhsa_user_sgpr_queue_ptr 0
		.amdhsa_user_sgpr_kernarg_segment_ptr 1
		.amdhsa_user_sgpr_dispatch_id 0
		.amdhsa_user_sgpr_private_segment_size 0
		.amdhsa_wavefront_size32 1
		.amdhsa_uses_dynamic_stack 0
		.amdhsa_enable_private_segment 0
		.amdhsa_system_sgpr_workgroup_id_x 1
		.amdhsa_system_sgpr_workgroup_id_y 0
		.amdhsa_system_sgpr_workgroup_id_z 0
		.amdhsa_system_sgpr_workgroup_info 0
		.amdhsa_system_vgpr_workitem_id 0
		.amdhsa_next_free_vgpr 23
		.amdhsa_next_free_sgpr 16
		.amdhsa_reserve_vcc 1
		.amdhsa_float_round_mode_32 0
		.amdhsa_float_round_mode_16_64 0
		.amdhsa_float_denorm_mode_32 3
		.amdhsa_float_denorm_mode_16_64 3
		.amdhsa_dx10_clamp 1
		.amdhsa_ieee_mode 1
		.amdhsa_fp16_overflow 0
		.amdhsa_workgroup_processor_mode 1
		.amdhsa_memory_ordered 1
		.amdhsa_forward_progress 0
		.amdhsa_shared_vgpr_count 0
		.amdhsa_exception_fp_ieee_invalid_op 0
		.amdhsa_exception_fp_denorm_src 0
		.amdhsa_exception_fp_ieee_div_zero 0
		.amdhsa_exception_fp_ieee_overflow 0
		.amdhsa_exception_fp_ieee_underflow 0
		.amdhsa_exception_fp_ieee_inexact 0
		.amdhsa_exception_int_div_zero 0
	.end_amdhsa_kernel
	.section	.text._Z6kernelI9histogramILN6hipcub23BlockHistogramAlgorithmE0EEyLj256ELj1ELj256ELj100EEvPKT0_PS4_,"axG",@progbits,_Z6kernelI9histogramILN6hipcub23BlockHistogramAlgorithmE0EEyLj256ELj1ELj256ELj100EEvPKT0_PS4_,comdat
.Lfunc_end18:
	.size	_Z6kernelI9histogramILN6hipcub23BlockHistogramAlgorithmE0EEyLj256ELj1ELj256ELj100EEvPKT0_PS4_, .Lfunc_end18-_Z6kernelI9histogramILN6hipcub23BlockHistogramAlgorithmE0EEyLj256ELj1ELj256ELj100EEvPKT0_PS4_
                                        ; -- End function
	.section	.AMDGPU.csdata,"",@progbits
; Kernel info:
; codeLenInByte = 664
; NumSgprs: 18
; NumVgprs: 23
; ScratchSize: 0
; MemoryBound: 0
; FloatMode: 240
; IeeeMode: 1
; LDSByteSize: 2048 bytes/workgroup (compile time only)
; SGPRBlocks: 2
; VGPRBlocks: 2
; NumSGPRsForWavesPerEU: 18
; NumVGPRsForWavesPerEU: 23
; Occupancy: 16
; WaveLimiterHint : 0
; COMPUTE_PGM_RSRC2:SCRATCH_EN: 0
; COMPUTE_PGM_RSRC2:USER_SGPR: 15
; COMPUTE_PGM_RSRC2:TRAP_HANDLER: 0
; COMPUTE_PGM_RSRC2:TGID_X_EN: 1
; COMPUTE_PGM_RSRC2:TGID_Y_EN: 0
; COMPUTE_PGM_RSRC2:TGID_Z_EN: 0
; COMPUTE_PGM_RSRC2:TIDIG_COMP_CNT: 0
	.section	.text._Z6kernelI9histogramILN6hipcub23BlockHistogramAlgorithmE0EEyLj256ELj2ELj256ELj100EEvPKT0_PS4_,"axG",@progbits,_Z6kernelI9histogramILN6hipcub23BlockHistogramAlgorithmE0EEyLj256ELj2ELj256ELj100EEvPKT0_PS4_,comdat
	.protected	_Z6kernelI9histogramILN6hipcub23BlockHistogramAlgorithmE0EEyLj256ELj2ELj256ELj100EEvPKT0_PS4_ ; -- Begin function _Z6kernelI9histogramILN6hipcub23BlockHistogramAlgorithmE0EEyLj256ELj2ELj256ELj100EEvPKT0_PS4_
	.globl	_Z6kernelI9histogramILN6hipcub23BlockHistogramAlgorithmE0EEyLj256ELj2ELj256ELj100EEvPKT0_PS4_
	.p2align	8
	.type	_Z6kernelI9histogramILN6hipcub23BlockHistogramAlgorithmE0EEyLj256ELj2ELj256ELj100EEvPKT0_PS4_,@function
_Z6kernelI9histogramILN6hipcub23BlockHistogramAlgorithmE0EEyLj256ELj2ELj256ELj100EEvPKT0_PS4_: ; @_Z6kernelI9histogramILN6hipcub23BlockHistogramAlgorithmE0EEyLj256ELj2ELj256ELj100EEvPKT0_PS4_
; %bb.0:
	s_load_b128 s[0:3], s[0:1], 0x0
	v_dual_mov_b32 v1, 0 :: v_dual_lshlrev_b32 v2, 1, v0
	s_movk_i32 s4, 0x64
	s_delay_alu instid0(VALU_DEP_1) | instskip(NEXT) | instid1(VALU_DEP_2)
	v_mov_b32_e32 v3, v1
	v_lshl_or_b32 v2, s15, 9, v2
	s_delay_alu instid0(VALU_DEP_1) | instskip(SKIP_1) | instid1(VALU_DEP_1)
	v_lshlrev_b64 v[2:3], 3, v[2:3]
	s_waitcnt lgkmcnt(0)
	v_add_co_u32 v2, vcc_lo, s0, v2
	s_delay_alu instid0(VALU_DEP_2)
	v_add_co_ci_u32_e32 v3, vcc_lo, s1, v3, vcc_lo
	v_cmp_gt_u32_e32 vcc_lo, 0x100, v0
	global_load_b128 v[4:7], v[2:3], off
	v_lshlrev_b32_e32 v3, 3, v0
	s_waitcnt vmcnt(0)
	v_and_b32_e32 v2, 1, v4
	v_lshlrev_b32_e32 v8, 30, v4
	v_and_b32_e32 v15, 1, v6
	v_lshlrev_b32_e32 v17, 30, v6
	v_lshlrev_b32_e32 v18, 29, v6
	;; [unrolled: 1-line block ×8, first 2 shown]
	v_add_co_u32 v6, s0, v2, -1
	v_lshlrev_b32_e32 v9, 29, v4
	v_cndmask_b32_e64 v7, 0, 1, s0
	v_cmp_gt_i32_e64 s0, 0, v8
	v_lshlrev_b32_e32 v10, 28, v4
	v_not_b32_e32 v23, v8
	v_lshlrev_b32_e32 v11, 27, v4
	v_not_b32_e32 v24, v9
	v_cndmask_b32_e64 v8, 0, 1, s0
	v_cmp_gt_i32_e64 s0, 0, v9
	v_lshlrev_b32_e32 v12, 26, v4
	v_not_b32_e32 v25, v10
	v_lshlrev_b32_e32 v13, 25, v4
	v_not_b32_e32 v26, v11
	v_cndmask_b32_e64 v9, 0, 1, s0
	v_cmp_gt_i32_e64 s0, 0, v10
	v_lshlrev_b32_e32 v14, 24, v4
	v_not_b32_e32 v27, v12
	v_not_b32_e32 v28, v13
	;; [unrolled: 1-line block ×3, first 2 shown]
	v_cndmask_b32_e64 v10, 0, 1, s0
	v_cmp_gt_i32_e64 s0, 0, v11
	v_not_b32_e32 v29, v14
	v_not_b32_e32 v31, v18
	;; [unrolled: 1-line block ×4, first 2 shown]
	v_cndmask_b32_e64 v11, 0, 1, s0
	v_cmp_gt_i32_e64 s0, 0, v12
	v_not_b32_e32 v34, v21
	v_not_b32_e32 v35, v22
	;; [unrolled: 1-line block ×3, first 2 shown]
	v_lshlrev_b32_e32 v4, 3, v4
	v_cndmask_b32_e64 v12, 0, 1, s0
	v_cmp_gt_i32_e64 s0, 0, v13
	v_ashrrev_i32_e32 v23, 31, v23
	v_ashrrev_i32_e32 v24, 31, v24
	;; [unrolled: 1-line block ×4, first 2 shown]
	v_cndmask_b32_e64 v13, 0, 1, s0
	v_cmp_gt_i32_e64 s0, 0, v14
	v_ashrrev_i32_e32 v27, 31, v27
	v_ashrrev_i32_e32 v28, 31, v28
	v_ashrrev_i32_e32 v29, 31, v29
	v_ashrrev_i32_e32 v30, 31, v30
	v_cndmask_b32_e64 v14, 0, 1, s0
	v_add_co_u32 v15, s0, v15, -1
	s_delay_alu instid0(VALU_DEP_1)
	v_cndmask_b32_e64 v16, 0, 1, s0
	v_cmp_gt_i32_e64 s0, 0, v17
	v_ashrrev_i32_e32 v31, 31, v31
	v_ashrrev_i32_e32 v32, 31, v32
	;; [unrolled: 1-line block ×4, first 2 shown]
	v_cndmask_b32_e64 v17, 0, 1, s0
	v_cmp_gt_i32_e64 s0, 0, v18
	v_ashrrev_i32_e32 v35, 31, v35
	v_ashrrev_i32_e32 v36, 31, v36
	s_delay_alu instid0(VALU_DEP_3) | instskip(SKIP_1) | instid1(VALU_DEP_1)
	v_cndmask_b32_e64 v18, 0, 1, s0
	v_cmp_gt_i32_e64 s0, 0, v19
	v_cndmask_b32_e64 v19, 0, 1, s0
	v_cmp_gt_i32_e64 s0, 0, v20
	s_delay_alu instid0(VALU_DEP_1) | instskip(SKIP_1) | instid1(VALU_DEP_1)
	v_cndmask_b32_e64 v20, 0, 1, s0
	v_cmp_gt_i32_e64 s0, 0, v21
	v_cndmask_b32_e64 v21, 0, 1, s0
	v_cmp_gt_i32_e64 s0, 0, v22
	s_delay_alu instid0(VALU_DEP_1) | instskip(SKIP_1) | instid1(VALU_DEP_1)
	v_cndmask_b32_e64 v22, 0, 1, s0
	v_cmp_gt_i32_e64 s0, 0, v37
	v_cndmask_b32_e64 v37, 0, 1, s0
	s_branch .LBB19_2
.LBB19_1:                               ;   in Loop: Header=BB19_2 Depth=1
	s_or_b32 exec_lo, exec_lo, s1
	s_add_i32 s4, s4, -1
	s_waitcnt lgkmcnt(0)
	s_cmp_eq_u32 s4, 0
	s_barrier
	buffer_gl0_inv
	s_cbranch_scc1 .LBB19_8
.LBB19_2:                               ; =>This Inner Loop Header: Depth=1
	s_and_saveexec_b32 s0, vcc_lo
	s_cbranch_execz .LBB19_4
; %bb.3:                                ;   in Loop: Header=BB19_2 Depth=1
	v_mov_b32_e32 v2, v1
	ds_store_b64 v3, v[1:2]
.LBB19_4:                               ;   in Loop: Header=BB19_2 Depth=1
	s_or_b32 exec_lo, exec_lo, s0
	v_cmp_ne_u32_e64 s0, 0, v7
	v_cmp_ne_u32_e64 s1, 0, v8
	s_waitcnt lgkmcnt(0)
	s_barrier
	buffer_gl0_inv
	v_xor_b32_e32 v2, s0, v6
	v_cmp_ne_u32_e64 s0, 0, v9
	v_xor_b32_e32 v38, s1, v23
	v_cmp_ne_u32_e64 s1, 0, v10
	s_delay_alu instid0(VALU_DEP_4) | instskip(NEXT) | instid1(VALU_DEP_4)
	v_and_b32_e32 v2, exec_lo, v2
	v_xor_b32_e32 v39, s0, v24
	v_cmp_ne_u32_e64 s0, 0, v11
	s_delay_alu instid0(VALU_DEP_3) | instskip(SKIP_2) | instid1(VALU_DEP_3)
	v_and_b32_e32 v2, v2, v38
	v_xor_b32_e32 v38, s1, v25
	v_cmp_ne_u32_e64 s1, 0, v12
	v_and_b32_e32 v2, v2, v39
	v_xor_b32_e32 v39, s0, v26
	v_cmp_ne_u32_e64 s0, 0, v13
	s_delay_alu instid0(VALU_DEP_3) | instskip(SKIP_2) | instid1(VALU_DEP_2)
	v_and_b32_e32 v2, v2, v38
	v_xor_b32_e32 v38, s1, v27
	s_mov_b32 s1, exec_lo
	v_and_b32_e32 v2, v2, v39
	v_xor_b32_e32 v39, s0, v28
	v_cmp_ne_u32_e64 s0, 0, v14
	s_delay_alu instid0(VALU_DEP_3) | instskip(NEXT) | instid1(VALU_DEP_2)
	v_and_b32_e32 v2, v2, v38
	v_xor_b32_e32 v38, s0, v29
	s_delay_alu instid0(VALU_DEP_2) | instskip(NEXT) | instid1(VALU_DEP_1)
	v_and_b32_e32 v2, v2, v39
	v_and_b32_e32 v2, v2, v38
	s_delay_alu instid0(VALU_DEP_1) | instskip(NEXT) | instid1(VALU_DEP_1)
	v_mbcnt_lo_u32_b32 v38, v2, 0
	v_cmpx_eq_u32_e32 0, v38
	s_cbranch_execz .LBB19_6
; %bb.5:                                ;   in Loop: Header=BB19_2 Depth=1
	v_bcnt_u32_b32 v38, v2, 0
	v_mov_b32_e32 v39, v1
	ds_add_u64 v4, v[38:39]
.LBB19_6:                               ;   in Loop: Header=BB19_2 Depth=1
	s_or_b32 exec_lo, exec_lo, s1
	v_cmp_ne_u32_e64 s0, 0, v16
	v_cmp_ne_u32_e64 s1, 0, v17
	s_delay_alu instid0(VALU_DEP_2) | instskip(SKIP_1) | instid1(VALU_DEP_3)
	v_xor_b32_e32 v2, s0, v15
	v_cmp_ne_u32_e64 s0, 0, v18
	v_xor_b32_e32 v38, s1, v30
	v_cmp_ne_u32_e64 s1, 0, v19
	s_delay_alu instid0(VALU_DEP_4) | instskip(NEXT) | instid1(VALU_DEP_4)
	v_and_b32_e32 v2, exec_lo, v2
	v_xor_b32_e32 v39, s0, v31
	v_cmp_ne_u32_e64 s0, 0, v20
	s_delay_alu instid0(VALU_DEP_3) | instskip(SKIP_2) | instid1(VALU_DEP_3)
	v_and_b32_e32 v2, v2, v38
	v_xor_b32_e32 v38, s1, v32
	v_cmp_ne_u32_e64 s1, 0, v21
	v_and_b32_e32 v2, v2, v39
	v_xor_b32_e32 v39, s0, v33
	v_cmp_ne_u32_e64 s0, 0, v22
	s_delay_alu instid0(VALU_DEP_3) | instskip(SKIP_2) | instid1(VALU_DEP_2)
	v_and_b32_e32 v2, v2, v38
	v_xor_b32_e32 v38, s1, v34
	s_mov_b32 s1, exec_lo
	v_and_b32_e32 v2, v2, v39
	v_xor_b32_e32 v39, s0, v35
	v_cmp_ne_u32_e64 s0, 0, v37
	s_delay_alu instid0(VALU_DEP_3) | instskip(NEXT) | instid1(VALU_DEP_2)
	v_and_b32_e32 v2, v2, v38
	v_xor_b32_e32 v38, s0, v36
	s_delay_alu instid0(VALU_DEP_2) | instskip(NEXT) | instid1(VALU_DEP_1)
	v_and_b32_e32 v2, v2, v39
	v_and_b32_e32 v2, v2, v38
	s_delay_alu instid0(VALU_DEP_1) | instskip(NEXT) | instid1(VALU_DEP_1)
	v_mbcnt_lo_u32_b32 v38, v2, 0
	v_cmpx_eq_u32_e32 0, v38
	s_cbranch_execz .LBB19_1
; %bb.7:                                ;   in Loop: Header=BB19_2 Depth=1
	v_bcnt_u32_b32 v38, v2, 0
	v_mov_b32_e32 v39, v1
	ds_add_u64 v5, v[38:39]
	s_branch .LBB19_1
.LBB19_8:
	s_and_saveexec_b32 s0, vcc_lo
	s_cbranch_execz .LBB19_10
; %bb.9:
	ds_load_b64 v[1:2], v3
	v_lshl_or_b32 v3, s15, 8, v0
	v_mov_b32_e32 v4, 0
	s_delay_alu instid0(VALU_DEP_1) | instskip(NEXT) | instid1(VALU_DEP_1)
	v_lshlrev_b64 v[3:4], 3, v[3:4]
	v_add_co_u32 v3, vcc_lo, s2, v3
	s_delay_alu instid0(VALU_DEP_2)
	v_add_co_ci_u32_e32 v4, vcc_lo, s3, v4, vcc_lo
	s_waitcnt lgkmcnt(0)
	global_store_b64 v[3:4], v[1:2], off
.LBB19_10:
	s_nop 0
	s_sendmsg sendmsg(MSG_DEALLOC_VGPRS)
	s_endpgm
	.section	.rodata,"a",@progbits
	.p2align	6, 0x0
	.amdhsa_kernel _Z6kernelI9histogramILN6hipcub23BlockHistogramAlgorithmE0EEyLj256ELj2ELj256ELj100EEvPKT0_PS4_
		.amdhsa_group_segment_fixed_size 2048
		.amdhsa_private_segment_fixed_size 0
		.amdhsa_kernarg_size 16
		.amdhsa_user_sgpr_count 15
		.amdhsa_user_sgpr_dispatch_ptr 0
		.amdhsa_user_sgpr_queue_ptr 0
		.amdhsa_user_sgpr_kernarg_segment_ptr 1
		.amdhsa_user_sgpr_dispatch_id 0
		.amdhsa_user_sgpr_private_segment_size 0
		.amdhsa_wavefront_size32 1
		.amdhsa_uses_dynamic_stack 0
		.amdhsa_enable_private_segment 0
		.amdhsa_system_sgpr_workgroup_id_x 1
		.amdhsa_system_sgpr_workgroup_id_y 0
		.amdhsa_system_sgpr_workgroup_id_z 0
		.amdhsa_system_sgpr_workgroup_info 0
		.amdhsa_system_vgpr_workitem_id 0
		.amdhsa_next_free_vgpr 40
		.amdhsa_next_free_sgpr 16
		.amdhsa_reserve_vcc 1
		.amdhsa_float_round_mode_32 0
		.amdhsa_float_round_mode_16_64 0
		.amdhsa_float_denorm_mode_32 3
		.amdhsa_float_denorm_mode_16_64 3
		.amdhsa_dx10_clamp 1
		.amdhsa_ieee_mode 1
		.amdhsa_fp16_overflow 0
		.amdhsa_workgroup_processor_mode 1
		.amdhsa_memory_ordered 1
		.amdhsa_forward_progress 0
		.amdhsa_shared_vgpr_count 0
		.amdhsa_exception_fp_ieee_invalid_op 0
		.amdhsa_exception_fp_denorm_src 0
		.amdhsa_exception_fp_ieee_div_zero 0
		.amdhsa_exception_fp_ieee_overflow 0
		.amdhsa_exception_fp_ieee_underflow 0
		.amdhsa_exception_fp_ieee_inexact 0
		.amdhsa_exception_int_div_zero 0
	.end_amdhsa_kernel
	.section	.text._Z6kernelI9histogramILN6hipcub23BlockHistogramAlgorithmE0EEyLj256ELj2ELj256ELj100EEvPKT0_PS4_,"axG",@progbits,_Z6kernelI9histogramILN6hipcub23BlockHistogramAlgorithmE0EEyLj256ELj2ELj256ELj100EEvPKT0_PS4_,comdat
.Lfunc_end19:
	.size	_Z6kernelI9histogramILN6hipcub23BlockHistogramAlgorithmE0EEyLj256ELj2ELj256ELj100EEvPKT0_PS4_, .Lfunc_end19-_Z6kernelI9histogramILN6hipcub23BlockHistogramAlgorithmE0EEyLj256ELj2ELj256ELj100EEvPKT0_PS4_
                                        ; -- End function
	.section	.AMDGPU.csdata,"",@progbits
; Kernel info:
; codeLenInByte = 1100
; NumSgprs: 18
; NumVgprs: 40
; ScratchSize: 0
; MemoryBound: 0
; FloatMode: 240
; IeeeMode: 1
; LDSByteSize: 2048 bytes/workgroup (compile time only)
; SGPRBlocks: 2
; VGPRBlocks: 4
; NumSGPRsForWavesPerEU: 18
; NumVGPRsForWavesPerEU: 40
; Occupancy: 16
; WaveLimiterHint : 0
; COMPUTE_PGM_RSRC2:SCRATCH_EN: 0
; COMPUTE_PGM_RSRC2:USER_SGPR: 15
; COMPUTE_PGM_RSRC2:TRAP_HANDLER: 0
; COMPUTE_PGM_RSRC2:TGID_X_EN: 1
; COMPUTE_PGM_RSRC2:TGID_Y_EN: 0
; COMPUTE_PGM_RSRC2:TGID_Z_EN: 0
; COMPUTE_PGM_RSRC2:TIDIG_COMP_CNT: 0
	.section	.text._Z6kernelI9histogramILN6hipcub23BlockHistogramAlgorithmE0EEyLj256ELj3ELj256ELj100EEvPKT0_PS4_,"axG",@progbits,_Z6kernelI9histogramILN6hipcub23BlockHistogramAlgorithmE0EEyLj256ELj3ELj256ELj100EEvPKT0_PS4_,comdat
	.protected	_Z6kernelI9histogramILN6hipcub23BlockHistogramAlgorithmE0EEyLj256ELj3ELj256ELj100EEvPKT0_PS4_ ; -- Begin function _Z6kernelI9histogramILN6hipcub23BlockHistogramAlgorithmE0EEyLj256ELj3ELj256ELj100EEvPKT0_PS4_
	.globl	_Z6kernelI9histogramILN6hipcub23BlockHistogramAlgorithmE0EEyLj256ELj3ELj256ELj100EEvPKT0_PS4_
	.p2align	8
	.type	_Z6kernelI9histogramILN6hipcub23BlockHistogramAlgorithmE0EEyLj256ELj3ELj256ELj100EEvPKT0_PS4_,@function
_Z6kernelI9histogramILN6hipcub23BlockHistogramAlgorithmE0EEyLj256ELj3ELj256ELj100EEvPKT0_PS4_: ; @_Z6kernelI9histogramILN6hipcub23BlockHistogramAlgorithmE0EEyLj256ELj3ELj256ELj100EEvPKT0_PS4_
; %bb.0:
	s_load_b128 s[0:3], s[0:1], 0x0
	s_lshl_b32 s4, s15, 8
	v_mov_b32_e32 v2, 0
	v_or_b32_e32 v1, s4, v0
	s_movk_i32 s4, 0x64
	s_delay_alu instid0(VALU_DEP_2) | instskip(NEXT) | instid1(VALU_DEP_2)
	v_mov_b32_e32 v4, v2
	v_lshl_add_u32 v3, v1, 1, v1
	v_mov_b32_e32 v7, v2
	s_delay_alu instid0(VALU_DEP_2) | instskip(NEXT) | instid1(VALU_DEP_4)
	v_dual_mov_b32 v9, v2 :: v_dual_add_nc_u32 v8, 2, v3
	v_lshlrev_b64 v[4:5], 3, v[3:4]
	v_add_nc_u32_e32 v6, 1, v3
	s_delay_alu instid0(VALU_DEP_1) | instskip(SKIP_1) | instid1(VALU_DEP_3)
	v_lshlrev_b64 v[6:7], 3, v[6:7]
	s_waitcnt lgkmcnt(0)
	v_add_co_u32 v4, vcc_lo, s0, v4
	s_delay_alu instid0(VALU_DEP_4) | instskip(NEXT) | instid1(VALU_DEP_3)
	v_add_co_ci_u32_e32 v5, vcc_lo, s1, v5, vcc_lo
	v_add_co_u32 v3, vcc_lo, s0, v6
	global_load_b32 v10, v[4:5], off
	v_lshlrev_b64 v[5:6], 3, v[8:9]
	v_add_co_ci_u32_e32 v4, vcc_lo, s1, v7, vcc_lo
	global_load_b32 v7, v[3:4], off
	v_add_co_u32 v3, vcc_lo, s0, v5
	v_add_co_ci_u32_e32 v4, vcc_lo, s1, v6, vcc_lo
	v_cmp_gt_u32_e32 vcc_lo, 0x100, v0
	v_lshlrev_b32_e32 v0, 3, v0
	global_load_b32 v3, v[3:4], off
	s_waitcnt vmcnt(2)
	v_and_b32_e32 v8, 1, v10
	v_lshlrev_b32_e32 v9, 30, v10
	v_lshlrev_b32_e32 v11, 29, v10
	v_lshlrev_b32_e32 v12, 28, v10
	v_lshlrev_b32_e32 v13, 27, v10
	v_lshlrev_b32_e32 v14, 26, v10
	v_lshlrev_b32_e32 v15, 25, v10
	s_waitcnt vmcnt(1)
	v_and_b32_e32 v17, 1, v7
	v_lshlrev_b32_e32 v18, 30, v7
	v_lshlrev_b32_e32 v19, 29, v7
	;; [unrolled: 1-line block ×8, first 2 shown]
	v_add_co_u32 v7, s0, v8, -1
	s_delay_alu instid0(VALU_DEP_1)
	v_cndmask_b32_e64 v8, 0, 1, s0
	v_cmp_gt_i32_e64 s0, 0, v9
	s_waitcnt vmcnt(0)
	v_and_b32_e32 v25, 1, v3
	v_lshlrev_b32_e32 v27, 30, v3
	v_lshlrev_b32_e32 v28, 29, v3
	;; [unrolled: 1-line block ×8, first 2 shown]
	v_not_b32_e32 v3, v9
	v_cndmask_b32_e64 v9, 0, 1, s0
	v_cmp_gt_i32_e64 s0, 0, v11
	v_lshlrev_b32_e32 v16, 24, v10
	v_lshlrev_b32_e32 v4, 3, v10
	v_not_b32_e32 v34, v11
	v_not_b32_e32 v35, v12
	v_cndmask_b32_e64 v10, 0, 1, s0
	v_cmp_gt_i32_e64 s0, 0, v12
	v_not_b32_e32 v36, v13
	v_not_b32_e32 v37, v14
	v_not_b32_e32 v38, v15
	v_not_b32_e32 v39, v16
	v_cndmask_b32_e64 v11, 0, 1, s0
	v_cmp_gt_i32_e64 s0, 0, v13
	v_not_b32_e32 v40, v18
	v_not_b32_e32 v41, v19
	;; [unrolled: 6-line block ×5, first 2 shown]
	v_ashrrev_i32_e32 v33, 31, v3
	v_ashrrev_i32_e32 v34, 31, v34
	v_cndmask_b32_e64 v15, 0, 1, s0
	v_add_co_u32 v16, s0, v17, -1
	s_delay_alu instid0(VALU_DEP_1)
	v_cndmask_b32_e64 v17, 0, 1, s0
	v_cmp_gt_i32_e64 s0, 0, v18
	v_ashrrev_i32_e32 v35, 31, v35
	v_ashrrev_i32_e32 v36, 31, v36
	v_ashrrev_i32_e32 v37, 31, v37
	v_ashrrev_i32_e32 v38, 31, v38
	v_cndmask_b32_e64 v18, 0, 1, s0
	v_cmp_gt_i32_e64 s0, 0, v19
	v_ashrrev_i32_e32 v39, 31, v39
	v_ashrrev_i32_e32 v40, 31, v40
	v_ashrrev_i32_e32 v41, 31, v41
	v_ashrrev_i32_e32 v42, 31, v42
	;; [unrolled: 6-line block ×4, first 2 shown]
	v_cndmask_b32_e64 v21, 0, 1, s0
	v_cmp_gt_i32_e64 s0, 0, v22
	v_ashrrev_i32_e32 v51, 31, v51
	v_ashrrev_i32_e32 v52, 31, v52
	;; [unrolled: 1-line block ×3, first 2 shown]
	s_delay_alu instid0(VALU_DEP_4) | instskip(SKIP_1) | instid1(VALU_DEP_1)
	v_cndmask_b32_e64 v22, 0, 1, s0
	v_cmp_gt_i32_e64 s0, 0, v23
	v_cndmask_b32_e64 v23, 0, 1, s0
	v_cmp_gt_i32_e64 s0, 0, v24
	s_delay_alu instid0(VALU_DEP_1) | instskip(SKIP_1) | instid1(VALU_DEP_1)
	v_cndmask_b32_e64 v24, 0, 1, s0
	v_add_co_u32 v25, s0, v25, -1
	v_cndmask_b32_e64 v26, 0, 1, s0
	v_cmp_gt_i32_e64 s0, 0, v27
	s_delay_alu instid0(VALU_DEP_1) | instskip(SKIP_1) | instid1(VALU_DEP_1)
	v_cndmask_b32_e64 v27, 0, 1, s0
	v_cmp_gt_i32_e64 s0, 0, v28
	v_cndmask_b32_e64 v28, 0, 1, s0
	v_cmp_gt_i32_e64 s0, 0, v29
	s_delay_alu instid0(VALU_DEP_1) | instskip(SKIP_1) | instid1(VALU_DEP_1)
	v_cndmask_b32_e64 v29, 0, 1, s0
	v_cmp_gt_i32_e64 s0, 0, v30
	;; [unrolled: 5-line block ×3, first 2 shown]
	v_cndmask_b32_e64 v32, 0, 1, s0
	v_cmp_gt_i32_e64 s0, 0, v54
	s_delay_alu instid0(VALU_DEP_1)
	v_cndmask_b32_e64 v54, 0, 1, s0
	s_branch .LBB20_2
.LBB20_1:                               ;   in Loop: Header=BB20_2 Depth=1
	s_or_b32 exec_lo, exec_lo, s1
	s_add_i32 s4, s4, -1
	s_waitcnt lgkmcnt(0)
	s_cmp_eq_u32 s4, 0
	s_barrier
	buffer_gl0_inv
	s_cbranch_scc1 .LBB20_10
.LBB20_2:                               ; =>This Inner Loop Header: Depth=1
	s_and_saveexec_b32 s0, vcc_lo
	s_cbranch_execz .LBB20_4
; %bb.3:                                ;   in Loop: Header=BB20_2 Depth=1
	v_mov_b32_e32 v3, v2
	ds_store_b64 v0, v[2:3]
.LBB20_4:                               ;   in Loop: Header=BB20_2 Depth=1
	s_or_b32 exec_lo, exec_lo, s0
	v_cmp_ne_u32_e64 s0, 0, v8
	v_cmp_ne_u32_e64 s1, 0, v9
	s_waitcnt lgkmcnt(0)
	s_barrier
	buffer_gl0_inv
	v_xor_b32_e32 v3, s0, v7
	v_cmp_ne_u32_e64 s0, 0, v10
	v_xor_b32_e32 v55, s1, v33
	v_cmp_ne_u32_e64 s1, 0, v11
	s_delay_alu instid0(VALU_DEP_4) | instskip(NEXT) | instid1(VALU_DEP_4)
	v_and_b32_e32 v3, exec_lo, v3
	v_xor_b32_e32 v56, s0, v34
	v_cmp_ne_u32_e64 s0, 0, v12
	s_delay_alu instid0(VALU_DEP_3) | instskip(SKIP_2) | instid1(VALU_DEP_3)
	v_and_b32_e32 v3, v3, v55
	v_xor_b32_e32 v55, s1, v35
	v_cmp_ne_u32_e64 s1, 0, v13
	v_and_b32_e32 v3, v3, v56
	v_xor_b32_e32 v56, s0, v36
	v_cmp_ne_u32_e64 s0, 0, v14
	s_delay_alu instid0(VALU_DEP_3) | instskip(SKIP_2) | instid1(VALU_DEP_2)
	v_and_b32_e32 v3, v3, v55
	v_xor_b32_e32 v55, s1, v37
	s_mov_b32 s1, exec_lo
	v_and_b32_e32 v3, v3, v56
	v_xor_b32_e32 v56, s0, v38
	v_cmp_ne_u32_e64 s0, 0, v15
	s_delay_alu instid0(VALU_DEP_3) | instskip(NEXT) | instid1(VALU_DEP_2)
	v_and_b32_e32 v3, v3, v55
	v_xor_b32_e32 v55, s0, v39
	s_delay_alu instid0(VALU_DEP_2) | instskip(NEXT) | instid1(VALU_DEP_1)
	v_and_b32_e32 v3, v3, v56
	v_and_b32_e32 v3, v3, v55
	s_delay_alu instid0(VALU_DEP_1) | instskip(NEXT) | instid1(VALU_DEP_1)
	v_mbcnt_lo_u32_b32 v55, v3, 0
	v_cmpx_eq_u32_e32 0, v55
	s_cbranch_execz .LBB20_6
; %bb.5:                                ;   in Loop: Header=BB20_2 Depth=1
	v_bcnt_u32_b32 v55, v3, 0
	v_mov_b32_e32 v56, v2
	ds_add_u64 v4, v[55:56]
.LBB20_6:                               ;   in Loop: Header=BB20_2 Depth=1
	s_or_b32 exec_lo, exec_lo, s1
	v_cmp_ne_u32_e64 s0, 0, v17
	v_cmp_ne_u32_e64 s1, 0, v18
	s_delay_alu instid0(VALU_DEP_2) | instskip(SKIP_1) | instid1(VALU_DEP_3)
	v_xor_b32_e32 v3, s0, v16
	v_cmp_ne_u32_e64 s0, 0, v19
	v_xor_b32_e32 v55, s1, v40
	v_cmp_ne_u32_e64 s1, 0, v20
	s_delay_alu instid0(VALU_DEP_4) | instskip(NEXT) | instid1(VALU_DEP_4)
	v_and_b32_e32 v3, exec_lo, v3
	v_xor_b32_e32 v56, s0, v41
	v_cmp_ne_u32_e64 s0, 0, v21
	s_delay_alu instid0(VALU_DEP_3) | instskip(SKIP_2) | instid1(VALU_DEP_3)
	v_and_b32_e32 v3, v3, v55
	v_xor_b32_e32 v55, s1, v42
	v_cmp_ne_u32_e64 s1, 0, v22
	v_and_b32_e32 v3, v3, v56
	v_xor_b32_e32 v56, s0, v43
	v_cmp_ne_u32_e64 s0, 0, v23
	s_delay_alu instid0(VALU_DEP_3) | instskip(SKIP_2) | instid1(VALU_DEP_2)
	v_and_b32_e32 v3, v3, v55
	v_xor_b32_e32 v55, s1, v44
	s_mov_b32 s1, exec_lo
	v_and_b32_e32 v3, v3, v56
	v_xor_b32_e32 v56, s0, v45
	v_cmp_ne_u32_e64 s0, 0, v24
	s_delay_alu instid0(VALU_DEP_3) | instskip(NEXT) | instid1(VALU_DEP_2)
	v_and_b32_e32 v3, v3, v55
	v_xor_b32_e32 v55, s0, v46
	s_delay_alu instid0(VALU_DEP_2) | instskip(NEXT) | instid1(VALU_DEP_1)
	v_and_b32_e32 v3, v3, v56
	v_and_b32_e32 v3, v3, v55
	s_delay_alu instid0(VALU_DEP_1) | instskip(NEXT) | instid1(VALU_DEP_1)
	v_mbcnt_lo_u32_b32 v55, v3, 0
	v_cmpx_eq_u32_e32 0, v55
	s_cbranch_execz .LBB20_8
; %bb.7:                                ;   in Loop: Header=BB20_2 Depth=1
	v_bcnt_u32_b32 v55, v3, 0
	v_mov_b32_e32 v56, v2
	ds_add_u64 v5, v[55:56]
.LBB20_8:                               ;   in Loop: Header=BB20_2 Depth=1
	s_or_b32 exec_lo, exec_lo, s1
	v_cmp_ne_u32_e64 s0, 0, v26
	v_cmp_ne_u32_e64 s1, 0, v27
	s_delay_alu instid0(VALU_DEP_2) | instskip(SKIP_1) | instid1(VALU_DEP_3)
	v_xor_b32_e32 v3, s0, v25
	v_cmp_ne_u32_e64 s0, 0, v28
	v_xor_b32_e32 v55, s1, v47
	v_cmp_ne_u32_e64 s1, 0, v29
	s_delay_alu instid0(VALU_DEP_4) | instskip(NEXT) | instid1(VALU_DEP_4)
	v_and_b32_e32 v3, exec_lo, v3
	v_xor_b32_e32 v56, s0, v48
	v_cmp_ne_u32_e64 s0, 0, v30
	s_delay_alu instid0(VALU_DEP_3) | instskip(SKIP_2) | instid1(VALU_DEP_3)
	v_and_b32_e32 v3, v3, v55
	v_xor_b32_e32 v55, s1, v49
	v_cmp_ne_u32_e64 s1, 0, v31
	v_and_b32_e32 v3, v3, v56
	v_xor_b32_e32 v56, s0, v50
	v_cmp_ne_u32_e64 s0, 0, v32
	s_delay_alu instid0(VALU_DEP_3) | instskip(SKIP_2) | instid1(VALU_DEP_2)
	v_and_b32_e32 v3, v3, v55
	v_xor_b32_e32 v55, s1, v51
	s_mov_b32 s1, exec_lo
	v_and_b32_e32 v3, v3, v56
	v_xor_b32_e32 v56, s0, v52
	v_cmp_ne_u32_e64 s0, 0, v54
	s_delay_alu instid0(VALU_DEP_3) | instskip(NEXT) | instid1(VALU_DEP_2)
	v_and_b32_e32 v3, v3, v55
	v_xor_b32_e32 v55, s0, v53
	s_delay_alu instid0(VALU_DEP_2) | instskip(NEXT) | instid1(VALU_DEP_1)
	v_and_b32_e32 v3, v3, v56
	v_and_b32_e32 v3, v3, v55
	s_delay_alu instid0(VALU_DEP_1) | instskip(NEXT) | instid1(VALU_DEP_1)
	v_mbcnt_lo_u32_b32 v55, v3, 0
	v_cmpx_eq_u32_e32 0, v55
	s_cbranch_execz .LBB20_1
; %bb.9:                                ;   in Loop: Header=BB20_2 Depth=1
	v_bcnt_u32_b32 v55, v3, 0
	v_mov_b32_e32 v56, v2
	ds_add_u64 v6, v[55:56]
	s_branch .LBB20_1
.LBB20_10:
	s_and_saveexec_b32 s0, vcc_lo
	s_cbranch_execz .LBB20_12
; %bb.11:
	ds_load_b64 v[3:4], v0
	v_mov_b32_e32 v2, 0
	s_delay_alu instid0(VALU_DEP_1) | instskip(NEXT) | instid1(VALU_DEP_1)
	v_lshlrev_b64 v[0:1], 3, v[1:2]
	v_add_co_u32 v0, vcc_lo, s2, v0
	s_delay_alu instid0(VALU_DEP_2)
	v_add_co_ci_u32_e32 v1, vcc_lo, s3, v1, vcc_lo
	s_waitcnt lgkmcnt(0)
	global_store_b64 v[0:1], v[3:4], off
.LBB20_12:
	s_nop 0
	s_sendmsg sendmsg(MSG_DEALLOC_VGPRS)
	s_endpgm
	.section	.rodata,"a",@progbits
	.p2align	6, 0x0
	.amdhsa_kernel _Z6kernelI9histogramILN6hipcub23BlockHistogramAlgorithmE0EEyLj256ELj3ELj256ELj100EEvPKT0_PS4_
		.amdhsa_group_segment_fixed_size 2048
		.amdhsa_private_segment_fixed_size 0
		.amdhsa_kernarg_size 16
		.amdhsa_user_sgpr_count 15
		.amdhsa_user_sgpr_dispatch_ptr 0
		.amdhsa_user_sgpr_queue_ptr 0
		.amdhsa_user_sgpr_kernarg_segment_ptr 1
		.amdhsa_user_sgpr_dispatch_id 0
		.amdhsa_user_sgpr_private_segment_size 0
		.amdhsa_wavefront_size32 1
		.amdhsa_uses_dynamic_stack 0
		.amdhsa_enable_private_segment 0
		.amdhsa_system_sgpr_workgroup_id_x 1
		.amdhsa_system_sgpr_workgroup_id_y 0
		.amdhsa_system_sgpr_workgroup_id_z 0
		.amdhsa_system_sgpr_workgroup_info 0
		.amdhsa_system_vgpr_workitem_id 0
		.amdhsa_next_free_vgpr 57
		.amdhsa_next_free_sgpr 16
		.amdhsa_reserve_vcc 1
		.amdhsa_float_round_mode_32 0
		.amdhsa_float_round_mode_16_64 0
		.amdhsa_float_denorm_mode_32 3
		.amdhsa_float_denorm_mode_16_64 3
		.amdhsa_dx10_clamp 1
		.amdhsa_ieee_mode 1
		.amdhsa_fp16_overflow 0
		.amdhsa_workgroup_processor_mode 1
		.amdhsa_memory_ordered 1
		.amdhsa_forward_progress 0
		.amdhsa_shared_vgpr_count 0
		.amdhsa_exception_fp_ieee_invalid_op 0
		.amdhsa_exception_fp_denorm_src 0
		.amdhsa_exception_fp_ieee_div_zero 0
		.amdhsa_exception_fp_ieee_overflow 0
		.amdhsa_exception_fp_ieee_underflow 0
		.amdhsa_exception_fp_ieee_inexact 0
		.amdhsa_exception_int_div_zero 0
	.end_amdhsa_kernel
	.section	.text._Z6kernelI9histogramILN6hipcub23BlockHistogramAlgorithmE0EEyLj256ELj3ELj256ELj100EEvPKT0_PS4_,"axG",@progbits,_Z6kernelI9histogramILN6hipcub23BlockHistogramAlgorithmE0EEyLj256ELj3ELj256ELj100EEvPKT0_PS4_,comdat
.Lfunc_end20:
	.size	_Z6kernelI9histogramILN6hipcub23BlockHistogramAlgorithmE0EEyLj256ELj3ELj256ELj100EEvPKT0_PS4_, .Lfunc_end20-_Z6kernelI9histogramILN6hipcub23BlockHistogramAlgorithmE0EEyLj256ELj3ELj256ELj100EEvPKT0_PS4_
                                        ; -- End function
	.section	.AMDGPU.csdata,"",@progbits
; Kernel info:
; codeLenInByte = 1616
; NumSgprs: 18
; NumVgprs: 57
; ScratchSize: 0
; MemoryBound: 0
; FloatMode: 240
; IeeeMode: 1
; LDSByteSize: 2048 bytes/workgroup (compile time only)
; SGPRBlocks: 2
; VGPRBlocks: 7
; NumSGPRsForWavesPerEU: 18
; NumVGPRsForWavesPerEU: 57
; Occupancy: 16
; WaveLimiterHint : 0
; COMPUTE_PGM_RSRC2:SCRATCH_EN: 0
; COMPUTE_PGM_RSRC2:USER_SGPR: 15
; COMPUTE_PGM_RSRC2:TRAP_HANDLER: 0
; COMPUTE_PGM_RSRC2:TGID_X_EN: 1
; COMPUTE_PGM_RSRC2:TGID_Y_EN: 0
; COMPUTE_PGM_RSRC2:TGID_Z_EN: 0
; COMPUTE_PGM_RSRC2:TIDIG_COMP_CNT: 0
	.section	.text._Z6kernelI9histogramILN6hipcub23BlockHistogramAlgorithmE0EEyLj256ELj4ELj256ELj100EEvPKT0_PS4_,"axG",@progbits,_Z6kernelI9histogramILN6hipcub23BlockHistogramAlgorithmE0EEyLj256ELj4ELj256ELj100EEvPKT0_PS4_,comdat
	.protected	_Z6kernelI9histogramILN6hipcub23BlockHistogramAlgorithmE0EEyLj256ELj4ELj256ELj100EEvPKT0_PS4_ ; -- Begin function _Z6kernelI9histogramILN6hipcub23BlockHistogramAlgorithmE0EEyLj256ELj4ELj256ELj100EEvPKT0_PS4_
	.globl	_Z6kernelI9histogramILN6hipcub23BlockHistogramAlgorithmE0EEyLj256ELj4ELj256ELj100EEvPKT0_PS4_
	.p2align	8
	.type	_Z6kernelI9histogramILN6hipcub23BlockHistogramAlgorithmE0EEyLj256ELj4ELj256ELj100EEvPKT0_PS4_,@function
_Z6kernelI9histogramILN6hipcub23BlockHistogramAlgorithmE0EEyLj256ELj4ELj256ELj100EEvPKT0_PS4_: ; @_Z6kernelI9histogramILN6hipcub23BlockHistogramAlgorithmE0EEyLj256ELj4ELj256ELj100EEvPKT0_PS4_
; %bb.0:
	s_load_b128 s[16:19], s[0:1], 0x0
	v_dual_mov_b32 v1, 0 :: v_dual_lshlrev_b32 v2, 2, v0
	s_movk_i32 s22, 0x64
	s_delay_alu instid0(VALU_DEP_1) | instskip(NEXT) | instid1(VALU_DEP_2)
	v_mov_b32_e32 v3, v1
	v_lshl_or_b32 v2, s15, 10, v2
	s_delay_alu instid0(VALU_DEP_1) | instskip(SKIP_1) | instid1(VALU_DEP_1)
	v_lshlrev_b64 v[2:3], 3, v[2:3]
	s_waitcnt lgkmcnt(0)
	v_add_co_u32 v2, vcc_lo, s16, v2
	s_delay_alu instid0(VALU_DEP_2)
	v_add_co_ci_u32_e32 v3, vcc_lo, s17, v3, vcc_lo
	v_cmp_gt_u32_e32 vcc_lo, 0x100, v0
	s_clause 0x1
	global_load_b128 v[4:7], v[2:3], off
	global_load_b128 v[7:10], v[2:3], off offset:16
	v_lshlrev_b32_e32 v3, 3, v0
	s_waitcnt vmcnt(1)
	v_and_b32_e32 v2, 1, v4
	s_waitcnt vmcnt(0)
	v_lshlrev_b32_e32 v8, 24, v6
	v_and_b32_e32 v10, 1, v7
	v_lshlrev_b32_e32 v12, 30, v4
	v_lshlrev_b32_e32 v11, 30, v7
	;; [unrolled: 1-line block ×3, first 2 shown]
	v_cmp_gt_i32_e64 s0, 0, v8
	v_not_b32_e32 v52, v8
	v_add_co_u32 v8, s20, v10, -1
	v_add_co_u32 v10, s16, v2, -1
	v_cmp_gt_i32_e64 s1, 0, v11
	v_not_b32_e32 v53, v11
	v_cndmask_b32_e64 v11, 0, 1, s16
	v_cmp_gt_i32_e64 s16, 0, v12
	v_lshlrev_b32_e32 v14, 28, v4
	v_not_b32_e32 v39, v12
	v_lshlrev_b32_e32 v15, 27, v4
	v_not_b32_e32 v40, v13
	v_cndmask_b32_e64 v12, 0, 1, s16
	v_cmp_gt_i32_e64 s16, 0, v13
	v_lshlrev_b32_e32 v16, 26, v4
	v_not_b32_e32 v41, v14
	v_lshlrev_b32_e32 v17, 25, v4
	v_not_b32_e32 v42, v15
	v_cndmask_b32_e64 v13, 0, 1, s16
	v_cmp_gt_i32_e64 s16, 0, v14
	v_lshlrev_b32_e32 v18, 24, v4
	v_not_b32_e32 v43, v16
	v_and_b32_e32 v19, 1, v6
	v_not_b32_e32 v44, v17
	v_cndmask_b32_e64 v14, 0, 1, s16
	v_cmp_gt_i32_e64 s16, 0, v15
	v_lshlrev_b32_e32 v21, 30, v6
	v_lshlrev_b32_e32 v20, 29, v7
	v_not_b32_e32 v45, v18
	v_lshlrev_b32_e32 v22, 29, v6
	v_cndmask_b32_e64 v15, 0, 1, s16
	v_cmp_gt_i32_e64 s16, 0, v16
	v_cmp_gt_i32_e64 s2, 0, v20
	v_not_b32_e32 v55, v20
	v_lshlrev_b32_e32 v23, 28, v6
	v_not_b32_e32 v46, v21
	v_cndmask_b32_e64 v16, 0, 1, s16
	v_cmp_gt_i32_e64 s16, 0, v17
	v_lshlrev_b32_e32 v24, 27, v6
	v_not_b32_e32 v47, v22
	v_lshlrev_b32_e32 v25, 26, v6
	v_not_b32_e32 v48, v23
	v_cndmask_b32_e64 v17, 0, 1, s16
	v_cmp_gt_i32_e64 s16, 0, v18
	v_lshlrev_b32_e32 v54, 25, v6
	v_lshlrev_b32_e32 v26, 28, v7
	v_lshlrev_b32_e32 v27, 27, v7
	v_lshlrev_b32_e32 v28, 26, v7
	v_cndmask_b32_e64 v18, 0, 1, s16
	v_add_co_u32 v19, s16, v19, -1
	s_delay_alu instid0(VALU_DEP_1)
	v_cndmask_b32_e64 v20, 0, 1, s16
	v_cmp_gt_i32_e64 s16, 0, v21
	v_lshlrev_b32_e32 v29, 25, v7
	v_lshlrev_b32_e32 v30, 24, v7
	v_lshlrev_b32_e32 v32, 30, v9
	v_lshlrev_b32_e32 v33, 29, v9
	v_cndmask_b32_e64 v21, 0, 1, s16
	v_cmp_gt_i32_e64 s16, 0, v22
	v_lshlrev_b32_e32 v34, 28, v9
	v_lshlrev_b32_e32 v35, 27, v9
	;; [unrolled: 1-line block ×4, first 2 shown]
	v_cndmask_b32_e64 v22, 0, 1, s16
	v_cmp_gt_i32_e64 s16, 0, v23
	v_lshlrev_b32_e32 v38, 24, v9
	v_not_b32_e32 v49, v24
	v_and_b32_e32 v31, 1, v9
	v_not_b32_e32 v50, v25
	v_cndmask_b32_e64 v23, 0, 1, s16
	v_cmp_gt_i32_e64 s16, 0, v24
	v_not_b32_e32 v51, v54
	v_not_b32_e32 v56, v26
	;; [unrolled: 1-line block ×4, first 2 shown]
	v_cndmask_b32_e64 v24, 0, 1, s16
	v_cmp_gt_i32_e64 s16, 0, v25
	v_not_b32_e32 v59, v29
	v_not_b32_e32 v60, v30
	;; [unrolled: 1-line block ×9, first 2 shown]
	v_cndmask_b32_e64 v25, 0, 1, s16
	v_cmp_gt_i32_e64 s16, 0, v54
	v_lshlrev_b32_e32 v4, 3, v4
	v_lshlrev_b32_e32 v5, 3, v6
	;; [unrolled: 1-line block ×4, first 2 shown]
	v_cmp_gt_i32_e64 s3, 0, v26
	v_cmp_gt_i32_e64 s4, 0, v27
	;; [unrolled: 1-line block ×5, first 2 shown]
	v_add_co_u32 v9, s21, v31, -1
	v_cmp_gt_i32_e64 s8, 0, v32
	v_cmp_gt_i32_e64 s9, 0, v33
	;; [unrolled: 1-line block ×7, first 2 shown]
	v_ashrrev_i32_e32 v26, 31, v39
	v_ashrrev_i32_e32 v27, 31, v40
	;; [unrolled: 1-line block ×28, first 2 shown]
	v_cndmask_b32_e64 v54, 0, 1, s16
	s_branch .LBB21_2
.LBB21_1:                               ;   in Loop: Header=BB21_2 Depth=1
	s_or_b32 exec_lo, exec_lo, s17
	s_add_i32 s22, s22, -1
	s_waitcnt lgkmcnt(0)
	s_cmp_eq_u32 s22, 0
	s_barrier
	buffer_gl0_inv
	s_cbranch_scc1 .LBB21_12
.LBB21_2:                               ; =>This Inner Loop Header: Depth=1
	s_and_saveexec_b32 s16, vcc_lo
	s_cbranch_execz .LBB21_4
; %bb.3:                                ;   in Loop: Header=BB21_2 Depth=1
	v_mov_b32_e32 v2, v1
	ds_store_b64 v3, v[1:2]
.LBB21_4:                               ;   in Loop: Header=BB21_2 Depth=1
	s_or_b32 exec_lo, exec_lo, s16
	v_cmp_ne_u32_e64 s16, 0, v11
	v_cmp_ne_u32_e64 s17, 0, v12
	s_waitcnt lgkmcnt(0)
	s_barrier
	buffer_gl0_inv
	v_xor_b32_e32 v2, s16, v10
	v_cmp_ne_u32_e64 s16, 0, v13
	v_xor_b32_e32 v55, s17, v26
	v_cmp_ne_u32_e64 s17, 0, v14
	s_delay_alu instid0(VALU_DEP_4) | instskip(NEXT) | instid1(VALU_DEP_4)
	v_and_b32_e32 v2, exec_lo, v2
	v_xor_b32_e32 v56, s16, v27
	v_cmp_ne_u32_e64 s16, 0, v15
	s_delay_alu instid0(VALU_DEP_3) | instskip(SKIP_2) | instid1(VALU_DEP_3)
	v_and_b32_e32 v2, v2, v55
	v_xor_b32_e32 v55, s17, v28
	v_cmp_ne_u32_e64 s17, 0, v16
	v_and_b32_e32 v2, v2, v56
	v_xor_b32_e32 v56, s16, v29
	v_cmp_ne_u32_e64 s16, 0, v17
	s_delay_alu instid0(VALU_DEP_3) | instskip(SKIP_2) | instid1(VALU_DEP_2)
	v_and_b32_e32 v2, v2, v55
	v_xor_b32_e32 v55, s17, v30
	s_mov_b32 s17, exec_lo
	v_and_b32_e32 v2, v2, v56
	v_xor_b32_e32 v56, s16, v31
	v_cmp_ne_u32_e64 s16, 0, v18
	s_delay_alu instid0(VALU_DEP_3) | instskip(NEXT) | instid1(VALU_DEP_2)
	v_and_b32_e32 v2, v2, v55
	v_xor_b32_e32 v55, s16, v32
	s_delay_alu instid0(VALU_DEP_2) | instskip(NEXT) | instid1(VALU_DEP_1)
	v_and_b32_e32 v2, v2, v56
	v_and_b32_e32 v2, v2, v55
	s_delay_alu instid0(VALU_DEP_1) | instskip(NEXT) | instid1(VALU_DEP_1)
	v_mbcnt_lo_u32_b32 v55, v2, 0
	v_cmpx_eq_u32_e32 0, v55
	s_cbranch_execz .LBB21_6
; %bb.5:                                ;   in Loop: Header=BB21_2 Depth=1
	v_bcnt_u32_b32 v55, v2, 0
	v_mov_b32_e32 v56, v1
	ds_add_u64 v4, v[55:56]
.LBB21_6:                               ;   in Loop: Header=BB21_2 Depth=1
	s_or_b32 exec_lo, exec_lo, s17
	v_cmp_ne_u32_e64 s16, 0, v20
	v_cmp_ne_u32_e64 s17, 0, v21
	s_delay_alu instid0(VALU_DEP_2) | instskip(SKIP_1) | instid1(VALU_DEP_3)
	v_xor_b32_e32 v2, s16, v19
	v_cmp_ne_u32_e64 s16, 0, v22
	v_xor_b32_e32 v55, s17, v33
	v_cmp_ne_u32_e64 s17, 0, v23
	s_delay_alu instid0(VALU_DEP_4) | instskip(NEXT) | instid1(VALU_DEP_4)
	v_and_b32_e32 v2, exec_lo, v2
	v_xor_b32_e32 v56, s16, v34
	v_cmp_ne_u32_e64 s16, 0, v24
	s_delay_alu instid0(VALU_DEP_3) | instskip(SKIP_2) | instid1(VALU_DEP_3)
	v_and_b32_e32 v2, v2, v55
	v_xor_b32_e32 v55, s17, v35
	v_cmp_ne_u32_e64 s17, 0, v25
	v_and_b32_e32 v2, v2, v56
	v_xor_b32_e32 v56, s16, v36
	v_cmp_ne_u32_e64 s16, 0, v54
	s_delay_alu instid0(VALU_DEP_3) | instskip(SKIP_1) | instid1(VALU_DEP_3)
	v_and_b32_e32 v2, v2, v55
	v_xor_b32_e32 v55, s17, v37
	v_xor_b32_e32 v57, s16, v38
	s_mov_b32 s17, exec_lo
	s_delay_alu instid0(VALU_DEP_3) | instskip(SKIP_1) | instid1(VALU_DEP_2)
	v_and_b32_e32 v2, v2, v56
	v_cndmask_b32_e64 v56, 0, 1, s0
	v_and_b32_e32 v2, v2, v55
	s_delay_alu instid0(VALU_DEP_2) | instskip(NEXT) | instid1(VALU_DEP_2)
	v_cmp_ne_u32_e64 s16, 0, v56
	v_and_b32_e32 v2, v2, v57
	s_delay_alu instid0(VALU_DEP_2) | instskip(NEXT) | instid1(VALU_DEP_1)
	v_xor_b32_e32 v55, s16, v39
	v_and_b32_e32 v2, v2, v55
	s_delay_alu instid0(VALU_DEP_1) | instskip(NEXT) | instid1(VALU_DEP_1)
	v_mbcnt_lo_u32_b32 v55, v2, 0
	v_cmpx_eq_u32_e32 0, v55
	s_cbranch_execz .LBB21_8
; %bb.7:                                ;   in Loop: Header=BB21_2 Depth=1
	v_bcnt_u32_b32 v55, v2, 0
	v_mov_b32_e32 v56, v1
	ds_add_u64 v5, v[55:56]
.LBB21_8:                               ;   in Loop: Header=BB21_2 Depth=1
	s_or_b32 exec_lo, exec_lo, s17
	v_cndmask_b32_e64 v2, 0, 1, s20
	v_cndmask_b32_e64 v55, 0, 1, s1
	;; [unrolled: 1-line block ×4, first 2 shown]
	s_delay_alu instid0(VALU_DEP_4) | instskip(SKIP_2) | instid1(VALU_DEP_3)
	v_cmp_ne_u32_e64 s16, 0, v2
	v_cndmask_b32_e64 v2, 0, 1, s2
	v_cmp_ne_u32_e64 s17, 0, v55
	v_xor_b32_e32 v55, s16, v8
	s_delay_alu instid0(VALU_DEP_3) | instskip(NEXT) | instid1(VALU_DEP_3)
	v_cmp_ne_u32_e64 s16, 0, v2
	v_xor_b32_e32 v2, s17, v40
	v_cmp_ne_u32_e64 s17, 0, v56
	s_delay_alu instid0(VALU_DEP_4) | instskip(NEXT) | instid1(VALU_DEP_4)
	v_and_b32_e32 v55, exec_lo, v55
	v_xor_b32_e32 v56, s16, v41
	v_cmp_ne_u32_e64 s16, 0, v57
	s_delay_alu instid0(VALU_DEP_4) | instskip(NEXT) | instid1(VALU_DEP_4)
	v_xor_b32_e32 v57, s17, v42
	v_and_b32_e32 v2, v55, v2
	v_cndmask_b32_e64 v55, 0, 1, s5
	s_delay_alu instid0(VALU_DEP_2) | instskip(SKIP_1) | instid1(VALU_DEP_3)
	v_and_b32_e32 v2, v2, v56
	v_cndmask_b32_e64 v56, 0, 1, s6
	v_cmp_ne_u32_e64 s17, 0, v55
	v_xor_b32_e32 v55, s16, v43
	s_delay_alu instid0(VALU_DEP_4) | instskip(NEXT) | instid1(VALU_DEP_4)
	v_and_b32_e32 v2, v2, v57
	v_cmp_ne_u32_e64 s16, 0, v56
	s_delay_alu instid0(VALU_DEP_4) | instskip(SKIP_1) | instid1(VALU_DEP_3)
	v_xor_b32_e32 v56, s17, v44
	s_mov_b32 s17, exec_lo
	v_and_b32_e32 v2, v2, v55
	v_cndmask_b32_e64 v55, 0, 1, s7
	v_xor_b32_e32 v57, s16, v45
	s_delay_alu instid0(VALU_DEP_3) | instskip(NEXT) | instid1(VALU_DEP_3)
	v_and_b32_e32 v2, v2, v56
	v_cmp_ne_u32_e64 s16, 0, v55
	s_delay_alu instid0(VALU_DEP_2) | instskip(NEXT) | instid1(VALU_DEP_2)
	v_and_b32_e32 v2, v2, v57
	v_xor_b32_e32 v55, s16, v46
	s_delay_alu instid0(VALU_DEP_1) | instskip(NEXT) | instid1(VALU_DEP_1)
	v_and_b32_e32 v2, v2, v55
	v_mbcnt_lo_u32_b32 v55, v2, 0
	s_delay_alu instid0(VALU_DEP_1)
	v_cmpx_eq_u32_e32 0, v55
	s_cbranch_execz .LBB21_10
; %bb.9:                                ;   in Loop: Header=BB21_2 Depth=1
	v_bcnt_u32_b32 v55, v2, 0
	v_mov_b32_e32 v56, v1
	ds_add_u64 v6, v[55:56]
.LBB21_10:                              ;   in Loop: Header=BB21_2 Depth=1
	s_or_b32 exec_lo, exec_lo, s17
	v_cndmask_b32_e64 v2, 0, 1, s21
	v_cndmask_b32_e64 v55, 0, 1, s8
	;; [unrolled: 1-line block ×4, first 2 shown]
	s_delay_alu instid0(VALU_DEP_4) | instskip(SKIP_2) | instid1(VALU_DEP_3)
	v_cmp_ne_u32_e64 s16, 0, v2
	v_cndmask_b32_e64 v2, 0, 1, s9
	v_cmp_ne_u32_e64 s17, 0, v55
	v_xor_b32_e32 v55, s16, v9
	s_delay_alu instid0(VALU_DEP_3) | instskip(NEXT) | instid1(VALU_DEP_3)
	v_cmp_ne_u32_e64 s16, 0, v2
	v_xor_b32_e32 v2, s17, v47
	v_cmp_ne_u32_e64 s17, 0, v56
	s_delay_alu instid0(VALU_DEP_4) | instskip(NEXT) | instid1(VALU_DEP_4)
	v_and_b32_e32 v55, exec_lo, v55
	v_xor_b32_e32 v56, s16, v48
	v_cmp_ne_u32_e64 s16, 0, v57
	s_delay_alu instid0(VALU_DEP_4) | instskip(NEXT) | instid1(VALU_DEP_4)
	v_xor_b32_e32 v57, s17, v49
	v_and_b32_e32 v2, v55, v2
	v_cndmask_b32_e64 v55, 0, 1, s12
	s_delay_alu instid0(VALU_DEP_2) | instskip(SKIP_1) | instid1(VALU_DEP_3)
	v_and_b32_e32 v2, v2, v56
	v_cndmask_b32_e64 v56, 0, 1, s13
	v_cmp_ne_u32_e64 s17, 0, v55
	v_xor_b32_e32 v55, s16, v50
	s_delay_alu instid0(VALU_DEP_4) | instskip(NEXT) | instid1(VALU_DEP_4)
	v_and_b32_e32 v2, v2, v57
	v_cmp_ne_u32_e64 s16, 0, v56
	s_delay_alu instid0(VALU_DEP_4) | instskip(SKIP_1) | instid1(VALU_DEP_3)
	v_xor_b32_e32 v56, s17, v51
	s_mov_b32 s17, exec_lo
	v_and_b32_e32 v2, v2, v55
	v_cndmask_b32_e64 v55, 0, 1, s14
	v_xor_b32_e32 v57, s16, v52
	s_delay_alu instid0(VALU_DEP_3) | instskip(NEXT) | instid1(VALU_DEP_3)
	v_and_b32_e32 v2, v2, v56
	v_cmp_ne_u32_e64 s16, 0, v55
	s_delay_alu instid0(VALU_DEP_2) | instskip(NEXT) | instid1(VALU_DEP_2)
	v_and_b32_e32 v2, v2, v57
	v_xor_b32_e32 v55, s16, v53
	s_delay_alu instid0(VALU_DEP_1) | instskip(NEXT) | instid1(VALU_DEP_1)
	v_and_b32_e32 v2, v2, v55
	v_mbcnt_lo_u32_b32 v55, v2, 0
	s_delay_alu instid0(VALU_DEP_1)
	v_cmpx_eq_u32_e32 0, v55
	s_cbranch_execz .LBB21_1
; %bb.11:                               ;   in Loop: Header=BB21_2 Depth=1
	v_bcnt_u32_b32 v55, v2, 0
	v_mov_b32_e32 v56, v1
	ds_add_u64 v7, v[55:56]
	s_branch .LBB21_1
.LBB21_12:
	s_and_saveexec_b32 s0, vcc_lo
	s_cbranch_execz .LBB21_14
; %bb.13:
	ds_load_b64 v[1:2], v3
	v_lshl_or_b32 v3, s15, 8, v0
	v_mov_b32_e32 v4, 0
	s_delay_alu instid0(VALU_DEP_1) | instskip(NEXT) | instid1(VALU_DEP_1)
	v_lshlrev_b64 v[3:4], 3, v[3:4]
	v_add_co_u32 v3, vcc_lo, s18, v3
	s_delay_alu instid0(VALU_DEP_2)
	v_add_co_ci_u32_e32 v4, vcc_lo, s19, v4, vcc_lo
	s_waitcnt lgkmcnt(0)
	global_store_b64 v[3:4], v[1:2], off
.LBB21_14:
	s_nop 0
	s_sendmsg sendmsg(MSG_DEALLOC_VGPRS)
	s_endpgm
	.section	.rodata,"a",@progbits
	.p2align	6, 0x0
	.amdhsa_kernel _Z6kernelI9histogramILN6hipcub23BlockHistogramAlgorithmE0EEyLj256ELj4ELj256ELj100EEvPKT0_PS4_
		.amdhsa_group_segment_fixed_size 2048
		.amdhsa_private_segment_fixed_size 0
		.amdhsa_kernarg_size 16
		.amdhsa_user_sgpr_count 15
		.amdhsa_user_sgpr_dispatch_ptr 0
		.amdhsa_user_sgpr_queue_ptr 0
		.amdhsa_user_sgpr_kernarg_segment_ptr 1
		.amdhsa_user_sgpr_dispatch_id 0
		.amdhsa_user_sgpr_private_segment_size 0
		.amdhsa_wavefront_size32 1
		.amdhsa_uses_dynamic_stack 0
		.amdhsa_enable_private_segment 0
		.amdhsa_system_sgpr_workgroup_id_x 1
		.amdhsa_system_sgpr_workgroup_id_y 0
		.amdhsa_system_sgpr_workgroup_id_z 0
		.amdhsa_system_sgpr_workgroup_info 0
		.amdhsa_system_vgpr_workitem_id 0
		.amdhsa_next_free_vgpr 68
		.amdhsa_next_free_sgpr 23
		.amdhsa_reserve_vcc 1
		.amdhsa_float_round_mode_32 0
		.amdhsa_float_round_mode_16_64 0
		.amdhsa_float_denorm_mode_32 3
		.amdhsa_float_denorm_mode_16_64 3
		.amdhsa_dx10_clamp 1
		.amdhsa_ieee_mode 1
		.amdhsa_fp16_overflow 0
		.amdhsa_workgroup_processor_mode 1
		.amdhsa_memory_ordered 1
		.amdhsa_forward_progress 0
		.amdhsa_shared_vgpr_count 0
		.amdhsa_exception_fp_ieee_invalid_op 0
		.amdhsa_exception_fp_denorm_src 0
		.amdhsa_exception_fp_ieee_div_zero 0
		.amdhsa_exception_fp_ieee_overflow 0
		.amdhsa_exception_fp_ieee_underflow 0
		.amdhsa_exception_fp_ieee_inexact 0
		.amdhsa_exception_int_div_zero 0
	.end_amdhsa_kernel
	.section	.text._Z6kernelI9histogramILN6hipcub23BlockHistogramAlgorithmE0EEyLj256ELj4ELj256ELj100EEvPKT0_PS4_,"axG",@progbits,_Z6kernelI9histogramILN6hipcub23BlockHistogramAlgorithmE0EEyLj256ELj4ELj256ELj100EEvPKT0_PS4_,comdat
.Lfunc_end21:
	.size	_Z6kernelI9histogramILN6hipcub23BlockHistogramAlgorithmE0EEyLj256ELj4ELj256ELj100EEvPKT0_PS4_, .Lfunc_end21-_Z6kernelI9histogramILN6hipcub23BlockHistogramAlgorithmE0EEyLj256ELj4ELj256ELj100EEvPKT0_PS4_
                                        ; -- End function
	.section	.AMDGPU.csdata,"",@progbits
; Kernel info:
; codeLenInByte = 1980
; NumSgprs: 25
; NumVgprs: 68
; ScratchSize: 0
; MemoryBound: 0
; FloatMode: 240
; IeeeMode: 1
; LDSByteSize: 2048 bytes/workgroup (compile time only)
; SGPRBlocks: 3
; VGPRBlocks: 8
; NumSGPRsForWavesPerEU: 25
; NumVGPRsForWavesPerEU: 68
; Occupancy: 16
; WaveLimiterHint : 0
; COMPUTE_PGM_RSRC2:SCRATCH_EN: 0
; COMPUTE_PGM_RSRC2:USER_SGPR: 15
; COMPUTE_PGM_RSRC2:TRAP_HANDLER: 0
; COMPUTE_PGM_RSRC2:TGID_X_EN: 1
; COMPUTE_PGM_RSRC2:TGID_Y_EN: 0
; COMPUTE_PGM_RSRC2:TGID_Z_EN: 0
; COMPUTE_PGM_RSRC2:TIDIG_COMP_CNT: 0
	.section	.text._Z6kernelI9histogramILN6hipcub23BlockHistogramAlgorithmE0EEyLj256ELj8ELj256ELj100EEvPKT0_PS4_,"axG",@progbits,_Z6kernelI9histogramILN6hipcub23BlockHistogramAlgorithmE0EEyLj256ELj8ELj256ELj100EEvPKT0_PS4_,comdat
	.protected	_Z6kernelI9histogramILN6hipcub23BlockHistogramAlgorithmE0EEyLj256ELj8ELj256ELj100EEvPKT0_PS4_ ; -- Begin function _Z6kernelI9histogramILN6hipcub23BlockHistogramAlgorithmE0EEyLj256ELj8ELj256ELj100EEvPKT0_PS4_
	.globl	_Z6kernelI9histogramILN6hipcub23BlockHistogramAlgorithmE0EEyLj256ELj8ELj256ELj100EEvPKT0_PS4_
	.p2align	8
	.type	_Z6kernelI9histogramILN6hipcub23BlockHistogramAlgorithmE0EEyLj256ELj8ELj256ELj100EEvPKT0_PS4_,@function
_Z6kernelI9histogramILN6hipcub23BlockHistogramAlgorithmE0EEyLj256ELj8ELj256ELj100EEvPKT0_PS4_: ; @_Z6kernelI9histogramILN6hipcub23BlockHistogramAlgorithmE0EEyLj256ELj8ELj256ELj100EEvPKT0_PS4_
; %bb.0:
	s_load_b128 s[60:63], s[0:1], 0x0
	v_mov_b32_e32 v1, 0
	v_lshlrev_b32_e32 v3, 3, v0
	s_movk_i32 s70, 0x64
	s_delay_alu instid0(VALU_DEP_2) | instskip(NEXT) | instid1(VALU_DEP_2)
	v_mov_b32_e32 v5, v1
	v_lshl_or_b32 v4, s15, 11, v3
	s_delay_alu instid0(VALU_DEP_1) | instskip(SKIP_1) | instid1(VALU_DEP_1)
	v_lshlrev_b64 v[4:5], 3, v[4:5]
	s_waitcnt lgkmcnt(0)
	v_add_co_u32 v14, vcc_lo, s60, v4
	s_delay_alu instid0(VALU_DEP_2)
	v_add_co_ci_u32_e32 v15, vcc_lo, s61, v5, vcc_lo
	v_cmp_gt_u32_e32 vcc_lo, 0x100, v0
	s_clause 0x3
	global_load_b128 v[4:7], v[14:15], off
	global_load_b128 v[7:10], v[14:15], off offset:16
	global_load_b128 v[10:13], v[14:15], off offset:32
	;; [unrolled: 1-line block ×3, first 2 shown]
	s_waitcnt vmcnt(3)
	v_lshlrev_b32_e32 v14, 29, v4
	v_and_b32_e32 v2, 1, v4
	s_waitcnt vmcnt(1)
	v_lshlrev_b32_e32 v13, 30, v4
	v_lshlrev_b32_e32 v15, 28, v4
	;; [unrolled: 1-line block ×27, first 2 shown]
	v_and_b32_e32 v44, 1, v10
	v_lshlrev_b32_e32 v45, 30, v10
	v_lshlrev_b32_e32 v46, 29, v10
	;; [unrolled: 1-line block ×15, first 2 shown]
	s_waitcnt vmcnt(0)
	v_and_b32_e32 v60, 1, v73
	v_lshlrev_b32_e32 v61, 30, v73
	v_lshlrev_b32_e32 v62, 29, v73
	;; [unrolled: 1-line block ×8, first 2 shown]
	v_and_b32_e32 v68, 1, v75
	v_lshlrev_b32_e32 v69, 30, v75
	v_lshlrev_b32_e32 v70, 29, v75
	;; [unrolled: 1-line block ×7, first 2 shown]
	v_and_b32_e32 v20, 1, v6
	v_and_b32_e32 v28, 1, v7
	;; [unrolled: 1-line block ×4, first 2 shown]
	v_add_co_u32 v11, s60, v2, -1
	v_not_b32_e32 v2, v13
	v_not_b32_e32 v77, v14
	;; [unrolled: 1-line block ×5, first 2 shown]
	v_cmp_gt_i32_e64 s5, 0, v18
	v_not_b32_e32 v81, v18
	v_not_b32_e32 v82, v19
	;; [unrolled: 1-line block ×37, first 2 shown]
	v_cmp_gt_i32_e64 s44, 0, v61
	v_not_b32_e32 v61, v61
	v_cmp_gt_i32_e64 s45, 0, v62
	v_not_b32_e32 v62, v62
	v_cmp_gt_i32_e64 s46, 0, v63
	v_not_b32_e32 v63, v63
	v_cmp_gt_i32_e64 s47, 0, v64
	v_not_b32_e32 v64, v64
	v_cmp_gt_i32_e64 s48, 0, v65
	v_not_b32_e32 v65, v65
	v_cmp_gt_i32_e64 s49, 0, v66
	v_not_b32_e32 v66, v66
	v_cmp_gt_i32_e64 s50, 0, v67
	v_not_b32_e32 v67, v67
	v_add_co_u32 v18, s69, v68, -1
	v_cmp_gt_i32_e64 s51, 0, v69
	v_not_b32_e32 v68, v69
	v_cmp_gt_i32_e64 s52, 0, v70
	v_not_b32_e32 v69, v70
	;; [unrolled: 2-line block ×6, first 2 shown]
	v_not_b32_e32 v74, v76
	v_lshlrev_b32_e32 v4, 3, v4
	v_lshlrev_b32_e32 v5, 3, v6
	;; [unrolled: 1-line block ×5, first 2 shown]
	v_cmp_gt_i32_e64 s0, 0, v13
	v_cmp_gt_i32_e64 s1, 0, v14
	v_cmp_gt_i32_e64 s2, 0, v15
	v_cmp_gt_i32_e64 s3, 0, v16
	v_cmp_gt_i32_e64 s4, 0, v17
	v_cmp_gt_i32_e64 s6, 0, v19
	v_add_co_u32 v12, s61, v20, -1
	v_cmp_gt_i32_e64 s7, 0, v21
	v_cmp_gt_i32_e64 s8, 0, v22
	v_cmp_gt_i32_e64 s9, 0, v23
	v_cmp_gt_i32_e64 s10, 0, v24
	v_cmp_gt_i32_e64 s11, 0, v25
	v_cmp_gt_i32_e64 s12, 0, v26
	v_cmp_gt_i32_e64 s13, 0, v27
	v_add_co_u32 v13, s64, v28, -1
	v_cmp_gt_i32_e64 s14, 0, v29
	;; [unrolled: 8-line block ×6, first 2 shown]
	v_ashrrev_i32_e32 v19, 31, v2
	v_ashrrev_i32_e32 v20, 31, v77
	v_ashrrev_i32_e32 v21, 31, v78
	v_ashrrev_i32_e32 v22, 31, v79
	v_ashrrev_i32_e32 v23, 31, v80
	v_ashrrev_i32_e32 v24, 31, v81
	v_ashrrev_i32_e32 v25, 31, v82
	v_ashrrev_i32_e32 v26, 31, v83
	v_ashrrev_i32_e32 v27, 31, v84
	v_ashrrev_i32_e32 v28, 31, v85
	v_ashrrev_i32_e32 v29, 31, v86
	v_ashrrev_i32_e32 v30, 31, v87
	v_ashrrev_i32_e32 v31, 31, v88
	v_ashrrev_i32_e32 v32, 31, v89
	v_ashrrev_i32_e32 v33, 31, v90
	v_ashrrev_i32_e32 v34, 31, v91
	v_ashrrev_i32_e32 v35, 31, v92
	v_ashrrev_i32_e32 v36, 31, v93
	v_ashrrev_i32_e32 v37, 31, v94
	v_ashrrev_i32_e32 v38, 31, v95
	v_ashrrev_i32_e32 v39, 31, v96
	v_ashrrev_i32_e32 v40, 31, v97
	v_ashrrev_i32_e32 v41, 31, v98
	v_ashrrev_i32_e32 v42, 31, v99
	v_ashrrev_i32_e32 v43, 31, v100
	v_ashrrev_i32_e32 v44, 31, v101
	v_ashrrev_i32_e32 v45, 31, v102
	v_ashrrev_i32_e32 v46, 31, v103
	v_ashrrev_i32_e32 v47, 31, v104
	v_ashrrev_i32_e32 v48, 31, v105
	v_ashrrev_i32_e32 v49, 31, v106
	v_ashrrev_i32_e32 v50, 31, v107
	v_ashrrev_i32_e32 v51, 31, v108
	v_ashrrev_i32_e32 v52, 31, v109
	v_ashrrev_i32_e32 v53, 31, v110
	v_ashrrev_i32_e32 v54, 31, v111
	v_ashrrev_i32_e32 v55, 31, v112
	v_ashrrev_i32_e32 v56, 31, v113
	v_ashrrev_i32_e32 v57, 31, v114
	v_ashrrev_i32_e32 v58, 31, v115
	v_ashrrev_i32_e32 v59, 31, v116
	v_ashrrev_i32_e32 v60, 31, v117
	v_ashrrev_i32_e32 v61, 31, v61
	v_ashrrev_i32_e32 v62, 31, v62
	v_ashrrev_i32_e32 v63, 31, v63
	v_ashrrev_i32_e32 v64, 31, v64
	v_ashrrev_i32_e32 v65, 31, v65
	v_ashrrev_i32_e32 v66, 31, v66
	v_ashrrev_i32_e32 v67, 31, v67
	v_ashrrev_i32_e32 v68, 31, v68
	v_ashrrev_i32_e32 v69, 31, v69
	v_ashrrev_i32_e32 v70, 31, v70
	v_ashrrev_i32_e32 v71, 31, v71
	v_ashrrev_i32_e32 v72, 31, v72
	v_ashrrev_i32_e32 v73, 31, v73
	v_ashrrev_i32_e32 v74, 31, v74
	v_lshlrev_b32_e32 v75, 3, v75
	s_branch .LBB22_2
.LBB22_1:                               ;   in Loop: Header=BB22_2 Depth=1
	s_or_b32 exec_lo, exec_lo, s59
	s_add_i32 s70, s70, -1
	s_waitcnt lgkmcnt(0)
	s_cmp_eq_u32 s70, 0
	s_barrier
	buffer_gl0_inv
	s_cbranch_scc1 .LBB22_20
.LBB22_2:                               ; =>This Inner Loop Header: Depth=1
	s_and_saveexec_b32 s58, vcc_lo
	s_cbranch_execz .LBB22_4
; %bb.3:                                ;   in Loop: Header=BB22_2 Depth=1
	v_mov_b32_e32 v2, v1
	ds_store_b64 v3, v[1:2]
.LBB22_4:                               ;   in Loop: Header=BB22_2 Depth=1
	s_or_b32 exec_lo, exec_lo, s58
	v_cndmask_b32_e64 v2, 0, 1, s60
	v_cndmask_b32_e64 v76, 0, 1, s0
	;; [unrolled: 1-line block ×4, first 2 shown]
	s_waitcnt lgkmcnt(0)
	v_cmp_ne_u32_e64 s58, 0, v2
	v_cndmask_b32_e64 v2, 0, 1, s1
	v_cmp_ne_u32_e64 s59, 0, v76
	s_barrier
	buffer_gl0_inv
	v_xor_b32_e32 v76, s58, v11
	v_cmp_ne_u32_e64 s58, 0, v2
	v_xor_b32_e32 v2, s59, v19
	v_cmp_ne_u32_e64 s59, 0, v77
	s_delay_alu instid0(VALU_DEP_4) | instskip(NEXT) | instid1(VALU_DEP_4)
	v_and_b32_e32 v76, exec_lo, v76
	v_xor_b32_e32 v77, s58, v20
	v_cmp_ne_u32_e64 s58, 0, v78
	s_delay_alu instid0(VALU_DEP_4) | instskip(NEXT) | instid1(VALU_DEP_4)
	v_xor_b32_e32 v78, s59, v21
	v_and_b32_e32 v2, v76, v2
	v_cndmask_b32_e64 v76, 0, 1, s4
	s_delay_alu instid0(VALU_DEP_2) | instskip(SKIP_1) | instid1(VALU_DEP_3)
	v_and_b32_e32 v2, v2, v77
	v_cndmask_b32_e64 v77, 0, 1, s5
	v_cmp_ne_u32_e64 s59, 0, v76
	v_xor_b32_e32 v76, s58, v22
	s_delay_alu instid0(VALU_DEP_4) | instskip(NEXT) | instid1(VALU_DEP_4)
	v_and_b32_e32 v2, v2, v78
	v_cmp_ne_u32_e64 s58, 0, v77
	s_delay_alu instid0(VALU_DEP_4) | instskip(SKIP_1) | instid1(VALU_DEP_3)
	v_xor_b32_e32 v77, s59, v23
	s_mov_b32 s59, exec_lo
	v_and_b32_e32 v2, v2, v76
	v_cndmask_b32_e64 v76, 0, 1, s6
	v_xor_b32_e32 v78, s58, v24
	s_delay_alu instid0(VALU_DEP_3) | instskip(NEXT) | instid1(VALU_DEP_3)
	v_and_b32_e32 v2, v2, v77
	v_cmp_ne_u32_e64 s58, 0, v76
	s_delay_alu instid0(VALU_DEP_2) | instskip(NEXT) | instid1(VALU_DEP_2)
	v_and_b32_e32 v2, v2, v78
	v_xor_b32_e32 v76, s58, v25
	s_delay_alu instid0(VALU_DEP_1) | instskip(NEXT) | instid1(VALU_DEP_1)
	v_and_b32_e32 v2, v2, v76
	v_mbcnt_lo_u32_b32 v76, v2, 0
	s_delay_alu instid0(VALU_DEP_1)
	v_cmpx_eq_u32_e32 0, v76
	s_cbranch_execz .LBB22_6
; %bb.5:                                ;   in Loop: Header=BB22_2 Depth=1
	v_bcnt_u32_b32 v76, v2, 0
	v_mov_b32_e32 v77, v1
	ds_add_u64 v4, v[76:77]
.LBB22_6:                               ;   in Loop: Header=BB22_2 Depth=1
	s_or_b32 exec_lo, exec_lo, s59
	v_cndmask_b32_e64 v2, 0, 1, s61
	v_cndmask_b32_e64 v76, 0, 1, s7
	;; [unrolled: 1-line block ×4, first 2 shown]
	s_delay_alu instid0(VALU_DEP_4) | instskip(SKIP_2) | instid1(VALU_DEP_3)
	v_cmp_ne_u32_e64 s58, 0, v2
	v_cndmask_b32_e64 v2, 0, 1, s8
	v_cmp_ne_u32_e64 s59, 0, v76
	v_xor_b32_e32 v76, s58, v12
	s_delay_alu instid0(VALU_DEP_3) | instskip(NEXT) | instid1(VALU_DEP_3)
	v_cmp_ne_u32_e64 s58, 0, v2
	v_xor_b32_e32 v2, s59, v26
	v_cmp_ne_u32_e64 s59, 0, v77
	s_delay_alu instid0(VALU_DEP_4) | instskip(NEXT) | instid1(VALU_DEP_4)
	v_and_b32_e32 v76, exec_lo, v76
	v_xor_b32_e32 v77, s58, v27
	v_cmp_ne_u32_e64 s58, 0, v78
	s_delay_alu instid0(VALU_DEP_4) | instskip(NEXT) | instid1(VALU_DEP_4)
	v_xor_b32_e32 v78, s59, v28
	v_and_b32_e32 v2, v76, v2
	v_cndmask_b32_e64 v76, 0, 1, s11
	s_delay_alu instid0(VALU_DEP_2) | instskip(SKIP_1) | instid1(VALU_DEP_3)
	v_and_b32_e32 v2, v2, v77
	v_cndmask_b32_e64 v77, 0, 1, s12
	v_cmp_ne_u32_e64 s59, 0, v76
	v_xor_b32_e32 v76, s58, v29
	s_delay_alu instid0(VALU_DEP_4) | instskip(NEXT) | instid1(VALU_DEP_4)
	v_and_b32_e32 v2, v2, v78
	v_cmp_ne_u32_e64 s58, 0, v77
	s_delay_alu instid0(VALU_DEP_4) | instskip(SKIP_1) | instid1(VALU_DEP_3)
	v_xor_b32_e32 v77, s59, v30
	s_mov_b32 s59, exec_lo
	v_and_b32_e32 v2, v2, v76
	v_cndmask_b32_e64 v76, 0, 1, s13
	v_xor_b32_e32 v78, s58, v31
	s_delay_alu instid0(VALU_DEP_3) | instskip(NEXT) | instid1(VALU_DEP_3)
	v_and_b32_e32 v2, v2, v77
	v_cmp_ne_u32_e64 s58, 0, v76
	s_delay_alu instid0(VALU_DEP_2) | instskip(NEXT) | instid1(VALU_DEP_2)
	v_and_b32_e32 v2, v2, v78
	v_xor_b32_e32 v76, s58, v32
	s_delay_alu instid0(VALU_DEP_1) | instskip(NEXT) | instid1(VALU_DEP_1)
	v_and_b32_e32 v2, v2, v76
	v_mbcnt_lo_u32_b32 v76, v2, 0
	s_delay_alu instid0(VALU_DEP_1)
	v_cmpx_eq_u32_e32 0, v76
	s_cbranch_execz .LBB22_8
; %bb.7:                                ;   in Loop: Header=BB22_2 Depth=1
	v_bcnt_u32_b32 v76, v2, 0
	v_mov_b32_e32 v77, v1
	ds_add_u64 v5, v[76:77]
.LBB22_8:                               ;   in Loop: Header=BB22_2 Depth=1
	s_or_b32 exec_lo, exec_lo, s59
	v_cndmask_b32_e64 v2, 0, 1, s64
	v_cndmask_b32_e64 v76, 0, 1, s14
	;; [unrolled: 1-line block ×4, first 2 shown]
	s_delay_alu instid0(VALU_DEP_4) | instskip(SKIP_2) | instid1(VALU_DEP_3)
	v_cmp_ne_u32_e64 s58, 0, v2
	v_cndmask_b32_e64 v2, 0, 1, s16
	v_cmp_ne_u32_e64 s59, 0, v76
	v_xor_b32_e32 v76, s58, v13
	s_delay_alu instid0(VALU_DEP_3) | instskip(NEXT) | instid1(VALU_DEP_3)
	v_cmp_ne_u32_e64 s58, 0, v2
	v_xor_b32_e32 v2, s59, v33
	v_cmp_ne_u32_e64 s59, 0, v77
	s_delay_alu instid0(VALU_DEP_4) | instskip(NEXT) | instid1(VALU_DEP_4)
	v_and_b32_e32 v76, exec_lo, v76
	v_xor_b32_e32 v77, s58, v34
	v_cmp_ne_u32_e64 s58, 0, v78
	s_delay_alu instid0(VALU_DEP_4) | instskip(NEXT) | instid1(VALU_DEP_4)
	v_xor_b32_e32 v78, s59, v35
	v_and_b32_e32 v2, v76, v2
	v_cndmask_b32_e64 v76, 0, 1, s19
	s_delay_alu instid0(VALU_DEP_2) | instskip(SKIP_1) | instid1(VALU_DEP_3)
	v_and_b32_e32 v2, v2, v77
	v_cndmask_b32_e64 v77, 0, 1, s20
	v_cmp_ne_u32_e64 s59, 0, v76
	v_xor_b32_e32 v76, s58, v36
	s_delay_alu instid0(VALU_DEP_4) | instskip(NEXT) | instid1(VALU_DEP_4)
	v_and_b32_e32 v2, v2, v78
	v_cmp_ne_u32_e64 s58, 0, v77
	s_delay_alu instid0(VALU_DEP_4) | instskip(SKIP_1) | instid1(VALU_DEP_3)
	v_xor_b32_e32 v77, s59, v37
	s_mov_b32 s59, exec_lo
	v_and_b32_e32 v2, v2, v76
	v_cndmask_b32_e64 v76, 0, 1, s21
	v_xor_b32_e32 v78, s58, v38
	s_delay_alu instid0(VALU_DEP_3) | instskip(NEXT) | instid1(VALU_DEP_3)
	v_and_b32_e32 v2, v2, v77
	v_cmp_ne_u32_e64 s58, 0, v76
	s_delay_alu instid0(VALU_DEP_2) | instskip(NEXT) | instid1(VALU_DEP_2)
	v_and_b32_e32 v2, v2, v78
	v_xor_b32_e32 v76, s58, v39
	s_delay_alu instid0(VALU_DEP_1) | instskip(NEXT) | instid1(VALU_DEP_1)
	v_and_b32_e32 v2, v2, v76
	v_mbcnt_lo_u32_b32 v76, v2, 0
	s_delay_alu instid0(VALU_DEP_1)
	v_cmpx_eq_u32_e32 0, v76
	s_cbranch_execz .LBB22_10
; %bb.9:                                ;   in Loop: Header=BB22_2 Depth=1
	v_bcnt_u32_b32 v76, v2, 0
	v_mov_b32_e32 v77, v1
	ds_add_u64 v6, v[76:77]
.LBB22_10:                              ;   in Loop: Header=BB22_2 Depth=1
	s_or_b32 exec_lo, exec_lo, s59
	v_cndmask_b32_e64 v2, 0, 1, s65
	v_cndmask_b32_e64 v76, 0, 1, s22
	v_cndmask_b32_e64 v77, 0, 1, s24
	v_cndmask_b32_e64 v78, 0, 1, s25
	s_delay_alu instid0(VALU_DEP_4) | instskip(SKIP_2) | instid1(VALU_DEP_3)
	v_cmp_ne_u32_e64 s58, 0, v2
	v_cndmask_b32_e64 v2, 0, 1, s23
	v_cmp_ne_u32_e64 s59, 0, v76
	v_xor_b32_e32 v76, s58, v14
	s_delay_alu instid0(VALU_DEP_3) | instskip(NEXT) | instid1(VALU_DEP_3)
	v_cmp_ne_u32_e64 s58, 0, v2
	v_xor_b32_e32 v2, s59, v40
	v_cmp_ne_u32_e64 s59, 0, v77
	s_delay_alu instid0(VALU_DEP_4) | instskip(NEXT) | instid1(VALU_DEP_4)
	v_and_b32_e32 v76, exec_lo, v76
	v_xor_b32_e32 v77, s58, v41
	v_cmp_ne_u32_e64 s58, 0, v78
	s_delay_alu instid0(VALU_DEP_4) | instskip(NEXT) | instid1(VALU_DEP_4)
	v_xor_b32_e32 v78, s59, v42
	v_and_b32_e32 v2, v76, v2
	v_cndmask_b32_e64 v76, 0, 1, s26
	s_delay_alu instid0(VALU_DEP_2) | instskip(SKIP_1) | instid1(VALU_DEP_3)
	v_and_b32_e32 v2, v2, v77
	v_cndmask_b32_e64 v77, 0, 1, s27
	v_cmp_ne_u32_e64 s59, 0, v76
	v_xor_b32_e32 v76, s58, v43
	s_delay_alu instid0(VALU_DEP_4) | instskip(NEXT) | instid1(VALU_DEP_4)
	v_and_b32_e32 v2, v2, v78
	v_cmp_ne_u32_e64 s58, 0, v77
	s_delay_alu instid0(VALU_DEP_4) | instskip(SKIP_1) | instid1(VALU_DEP_3)
	v_xor_b32_e32 v77, s59, v44
	s_mov_b32 s59, exec_lo
	v_and_b32_e32 v2, v2, v76
	v_cndmask_b32_e64 v76, 0, 1, s28
	v_xor_b32_e32 v78, s58, v45
	s_delay_alu instid0(VALU_DEP_3) | instskip(NEXT) | instid1(VALU_DEP_3)
	v_and_b32_e32 v2, v2, v77
	v_cmp_ne_u32_e64 s58, 0, v76
	s_delay_alu instid0(VALU_DEP_2) | instskip(NEXT) | instid1(VALU_DEP_2)
	v_and_b32_e32 v2, v2, v78
	v_xor_b32_e32 v76, s58, v46
	s_delay_alu instid0(VALU_DEP_1) | instskip(NEXT) | instid1(VALU_DEP_1)
	v_and_b32_e32 v2, v2, v76
	v_mbcnt_lo_u32_b32 v76, v2, 0
	s_delay_alu instid0(VALU_DEP_1)
	v_cmpx_eq_u32_e32 0, v76
	s_cbranch_execz .LBB22_12
; %bb.11:                               ;   in Loop: Header=BB22_2 Depth=1
	v_bcnt_u32_b32 v76, v2, 0
	v_mov_b32_e32 v77, v1
	ds_add_u64 v7, v[76:77]
.LBB22_12:                              ;   in Loop: Header=BB22_2 Depth=1
	s_or_b32 exec_lo, exec_lo, s59
	v_cndmask_b32_e64 v2, 0, 1, s66
	v_cndmask_b32_e64 v76, 0, 1, s29
	v_cndmask_b32_e64 v77, 0, 1, s31
	v_cndmask_b32_e64 v78, 0, 1, s33
	s_delay_alu instid0(VALU_DEP_4) | instskip(SKIP_2) | instid1(VALU_DEP_3)
	v_cmp_ne_u32_e64 s58, 0, v2
	v_cndmask_b32_e64 v2, 0, 1, s30
	v_cmp_ne_u32_e64 s59, 0, v76
	v_xor_b32_e32 v76, s58, v15
	s_delay_alu instid0(VALU_DEP_3) | instskip(NEXT) | instid1(VALU_DEP_3)
	v_cmp_ne_u32_e64 s58, 0, v2
	v_xor_b32_e32 v2, s59, v47
	v_cmp_ne_u32_e64 s59, 0, v77
	s_delay_alu instid0(VALU_DEP_4) | instskip(NEXT) | instid1(VALU_DEP_4)
	v_and_b32_e32 v76, exec_lo, v76
	v_xor_b32_e32 v77, s58, v48
	v_cmp_ne_u32_e64 s58, 0, v78
	s_delay_alu instid0(VALU_DEP_4) | instskip(NEXT) | instid1(VALU_DEP_4)
	v_xor_b32_e32 v78, s59, v49
	v_and_b32_e32 v2, v76, v2
	v_cndmask_b32_e64 v76, 0, 1, s34
	s_delay_alu instid0(VALU_DEP_2) | instskip(SKIP_1) | instid1(VALU_DEP_3)
	v_and_b32_e32 v2, v2, v77
	v_cndmask_b32_e64 v77, 0, 1, s35
	v_cmp_ne_u32_e64 s59, 0, v76
	v_xor_b32_e32 v76, s58, v50
	s_delay_alu instid0(VALU_DEP_4) | instskip(NEXT) | instid1(VALU_DEP_4)
	v_and_b32_e32 v2, v2, v78
	v_cmp_ne_u32_e64 s58, 0, v77
	s_delay_alu instid0(VALU_DEP_4) | instskip(SKIP_1) | instid1(VALU_DEP_3)
	v_xor_b32_e32 v77, s59, v51
	s_mov_b32 s59, exec_lo
	v_and_b32_e32 v2, v2, v76
	v_cndmask_b32_e64 v76, 0, 1, s36
	v_xor_b32_e32 v78, s58, v52
	s_delay_alu instid0(VALU_DEP_3) | instskip(NEXT) | instid1(VALU_DEP_3)
	v_and_b32_e32 v2, v2, v77
	v_cmp_ne_u32_e64 s58, 0, v76
	s_delay_alu instid0(VALU_DEP_2) | instskip(NEXT) | instid1(VALU_DEP_2)
	v_and_b32_e32 v2, v2, v78
	v_xor_b32_e32 v76, s58, v53
	s_delay_alu instid0(VALU_DEP_1) | instskip(NEXT) | instid1(VALU_DEP_1)
	v_and_b32_e32 v2, v2, v76
	v_mbcnt_lo_u32_b32 v76, v2, 0
	s_delay_alu instid0(VALU_DEP_1)
	v_cmpx_eq_u32_e32 0, v76
	s_cbranch_execz .LBB22_14
; %bb.13:                               ;   in Loop: Header=BB22_2 Depth=1
	v_bcnt_u32_b32 v76, v2, 0
	v_mov_b32_e32 v77, v1
	ds_add_u64 v8, v[76:77]
.LBB22_14:                              ;   in Loop: Header=BB22_2 Depth=1
	;; [unrolled: 53-line block ×4, first 2 shown]
	s_or_b32 exec_lo, exec_lo, s59
	v_cndmask_b32_e64 v2, 0, 1, s69
	v_cndmask_b32_e64 v76, 0, 1, s51
	;; [unrolled: 1-line block ×4, first 2 shown]
	s_delay_alu instid0(VALU_DEP_4) | instskip(SKIP_2) | instid1(VALU_DEP_3)
	v_cmp_ne_u32_e64 s58, 0, v2
	v_cndmask_b32_e64 v2, 0, 1, s52
	v_cmp_ne_u32_e64 s59, 0, v76
	v_xor_b32_e32 v76, s58, v18
	s_delay_alu instid0(VALU_DEP_3) | instskip(NEXT) | instid1(VALU_DEP_3)
	v_cmp_ne_u32_e64 s58, 0, v2
	v_xor_b32_e32 v2, s59, v68
	v_cmp_ne_u32_e64 s59, 0, v77
	s_delay_alu instid0(VALU_DEP_4) | instskip(NEXT) | instid1(VALU_DEP_4)
	v_and_b32_e32 v76, exec_lo, v76
	v_xor_b32_e32 v77, s58, v69
	v_cmp_ne_u32_e64 s58, 0, v78
	s_delay_alu instid0(VALU_DEP_4) | instskip(NEXT) | instid1(VALU_DEP_4)
	v_xor_b32_e32 v78, s59, v70
	v_and_b32_e32 v2, v76, v2
	v_cndmask_b32_e64 v76, 0, 1, s55
	s_delay_alu instid0(VALU_DEP_2) | instskip(SKIP_1) | instid1(VALU_DEP_3)
	v_and_b32_e32 v2, v2, v77
	v_cndmask_b32_e64 v77, 0, 1, s56
	v_cmp_ne_u32_e64 s59, 0, v76
	v_xor_b32_e32 v76, s58, v71
	s_delay_alu instid0(VALU_DEP_4) | instskip(NEXT) | instid1(VALU_DEP_4)
	v_and_b32_e32 v2, v2, v78
	v_cmp_ne_u32_e64 s58, 0, v77
	s_delay_alu instid0(VALU_DEP_4) | instskip(SKIP_1) | instid1(VALU_DEP_3)
	v_xor_b32_e32 v77, s59, v72
	s_mov_b32 s59, exec_lo
	v_and_b32_e32 v2, v2, v76
	v_cndmask_b32_e64 v76, 0, 1, s57
	v_xor_b32_e32 v78, s58, v73
	s_delay_alu instid0(VALU_DEP_3) | instskip(NEXT) | instid1(VALU_DEP_3)
	v_and_b32_e32 v2, v2, v77
	v_cmp_ne_u32_e64 s58, 0, v76
	s_delay_alu instid0(VALU_DEP_2) | instskip(NEXT) | instid1(VALU_DEP_2)
	v_and_b32_e32 v2, v2, v78
	v_xor_b32_e32 v76, s58, v74
	s_delay_alu instid0(VALU_DEP_1) | instskip(NEXT) | instid1(VALU_DEP_1)
	v_and_b32_e32 v2, v2, v76
	v_mbcnt_lo_u32_b32 v76, v2, 0
	s_delay_alu instid0(VALU_DEP_1)
	v_cmpx_eq_u32_e32 0, v76
	s_cbranch_execz .LBB22_1
; %bb.19:                               ;   in Loop: Header=BB22_2 Depth=1
	v_bcnt_u32_b32 v76, v2, 0
	v_mov_b32_e32 v77, v1
	ds_add_u64 v75, v[76:77]
	s_branch .LBB22_1
.LBB22_20:
	s_and_saveexec_b32 s0, vcc_lo
	s_cbranch_execz .LBB22_22
; %bb.21:
	ds_load_b64 v[1:2], v3
	v_lshl_or_b32 v3, s15, 8, v0
	v_mov_b32_e32 v4, 0
	s_delay_alu instid0(VALU_DEP_1) | instskip(NEXT) | instid1(VALU_DEP_1)
	v_lshlrev_b64 v[3:4], 3, v[3:4]
	v_add_co_u32 v3, vcc_lo, s62, v3
	s_delay_alu instid0(VALU_DEP_2)
	v_add_co_ci_u32_e32 v4, vcc_lo, s63, v4, vcc_lo
	s_waitcnt lgkmcnt(0)
	global_store_b64 v[3:4], v[1:2], off
.LBB22_22:
	s_nop 0
	s_sendmsg sendmsg(MSG_DEALLOC_VGPRS)
	s_endpgm
	.section	.rodata,"a",@progbits
	.p2align	6, 0x0
	.amdhsa_kernel _Z6kernelI9histogramILN6hipcub23BlockHistogramAlgorithmE0EEyLj256ELj8ELj256ELj100EEvPKT0_PS4_
		.amdhsa_group_segment_fixed_size 2048
		.amdhsa_private_segment_fixed_size 0
		.amdhsa_kernarg_size 16
		.amdhsa_user_sgpr_count 15
		.amdhsa_user_sgpr_dispatch_ptr 0
		.amdhsa_user_sgpr_queue_ptr 0
		.amdhsa_user_sgpr_kernarg_segment_ptr 1
		.amdhsa_user_sgpr_dispatch_id 0
		.amdhsa_user_sgpr_private_segment_size 0
		.amdhsa_wavefront_size32 1
		.amdhsa_uses_dynamic_stack 0
		.amdhsa_enable_private_segment 0
		.amdhsa_system_sgpr_workgroup_id_x 1
		.amdhsa_system_sgpr_workgroup_id_y 0
		.amdhsa_system_sgpr_workgroup_id_z 0
		.amdhsa_system_sgpr_workgroup_info 0
		.amdhsa_system_vgpr_workitem_id 0
		.amdhsa_next_free_vgpr 118
		.amdhsa_next_free_sgpr 71
		.amdhsa_reserve_vcc 1
		.amdhsa_float_round_mode_32 0
		.amdhsa_float_round_mode_16_64 0
		.amdhsa_float_denorm_mode_32 3
		.amdhsa_float_denorm_mode_16_64 3
		.amdhsa_dx10_clamp 1
		.amdhsa_ieee_mode 1
		.amdhsa_fp16_overflow 0
		.amdhsa_workgroup_processor_mode 1
		.amdhsa_memory_ordered 1
		.amdhsa_forward_progress 0
		.amdhsa_shared_vgpr_count 0
		.amdhsa_exception_fp_ieee_invalid_op 0
		.amdhsa_exception_fp_denorm_src 0
		.amdhsa_exception_fp_ieee_div_zero 0
		.amdhsa_exception_fp_ieee_overflow 0
		.amdhsa_exception_fp_ieee_underflow 0
		.amdhsa_exception_fp_ieee_inexact 0
		.amdhsa_exception_int_div_zero 0
	.end_amdhsa_kernel
	.section	.text._Z6kernelI9histogramILN6hipcub23BlockHistogramAlgorithmE0EEyLj256ELj8ELj256ELj100EEvPKT0_PS4_,"axG",@progbits,_Z6kernelI9histogramILN6hipcub23BlockHistogramAlgorithmE0EEyLj256ELj8ELj256ELj100EEvPKT0_PS4_,comdat
.Lfunc_end22:
	.size	_Z6kernelI9histogramILN6hipcub23BlockHistogramAlgorithmE0EEyLj256ELj8ELj256ELj100EEvPKT0_PS4_, .Lfunc_end22-_Z6kernelI9histogramILN6hipcub23BlockHistogramAlgorithmE0EEyLj256ELj8ELj256ELj100EEvPKT0_PS4_
                                        ; -- End function
	.section	.AMDGPU.csdata,"",@progbits
; Kernel info:
; codeLenInByte = 3760
; NumSgprs: 73
; NumVgprs: 118
; ScratchSize: 0
; MemoryBound: 0
; FloatMode: 240
; IeeeMode: 1
; LDSByteSize: 2048 bytes/workgroup (compile time only)
; SGPRBlocks: 9
; VGPRBlocks: 14
; NumSGPRsForWavesPerEU: 73
; NumVGPRsForWavesPerEU: 118
; Occupancy: 12
; WaveLimiterHint : 0
; COMPUTE_PGM_RSRC2:SCRATCH_EN: 0
; COMPUTE_PGM_RSRC2:USER_SGPR: 15
; COMPUTE_PGM_RSRC2:TRAP_HANDLER: 0
; COMPUTE_PGM_RSRC2:TGID_X_EN: 1
; COMPUTE_PGM_RSRC2:TGID_Y_EN: 0
; COMPUTE_PGM_RSRC2:TGID_Z_EN: 0
; COMPUTE_PGM_RSRC2:TIDIG_COMP_CNT: 0
	.section	.text._Z6kernelI9histogramILN6hipcub23BlockHistogramAlgorithmE0EEyLj256ELj16ELj256ELj100EEvPKT0_PS4_,"axG",@progbits,_Z6kernelI9histogramILN6hipcub23BlockHistogramAlgorithmE0EEyLj256ELj16ELj256ELj100EEvPKT0_PS4_,comdat
	.protected	_Z6kernelI9histogramILN6hipcub23BlockHistogramAlgorithmE0EEyLj256ELj16ELj256ELj100EEvPKT0_PS4_ ; -- Begin function _Z6kernelI9histogramILN6hipcub23BlockHistogramAlgorithmE0EEyLj256ELj16ELj256ELj100EEvPKT0_PS4_
	.globl	_Z6kernelI9histogramILN6hipcub23BlockHistogramAlgorithmE0EEyLj256ELj16ELj256ELj100EEvPKT0_PS4_
	.p2align	8
	.type	_Z6kernelI9histogramILN6hipcub23BlockHistogramAlgorithmE0EEyLj256ELj16ELj256ELj100EEvPKT0_PS4_,@function
_Z6kernelI9histogramILN6hipcub23BlockHistogramAlgorithmE0EEyLj256ELj16ELj256ELj100EEvPKT0_PS4_: ; @_Z6kernelI9histogramILN6hipcub23BlockHistogramAlgorithmE0EEyLj256ELj16ELj256ELj100EEvPKT0_PS4_
; %bb.0:
	s_load_b128 s[0:3], s[0:1], 0x0
	v_dual_mov_b32 v1, 0 :: v_dual_lshlrev_b32 v2, 4, v0
                                        ; implicit-def: $vgpr164 : SGPR spill to VGPR lane
	v_cmp_gt_u32_e64 s6, 0x100, v0
	v_writelane_b32 v164, s15, 0
	s_movk_i32 s25, 0x64
	s_delay_alu instid0(VALU_DEP_3) | instskip(SKIP_1) | instid1(VALU_DEP_1)
	v_mov_b32_e32 v3, v1
	v_lshl_or_b32 v2, s15, 12, v2
	v_lshlrev_b64 v[2:3], 3, v[2:3]
	s_waitcnt lgkmcnt(0)
	s_delay_alu instid0(VALU_DEP_1) | instskip(SKIP_1) | instid1(VALU_DEP_3)
	v_add_co_u32 v41, vcc_lo, s0, v2
	v_writelane_b32 v164, s0, 1
	v_add_co_ci_u32_e32 v42, vcc_lo, s1, v3, vcc_lo
	v_writelane_b32 v164, s1, 2
	s_clause 0x1
	global_load_b128 v[3:6], v[41:42], off
	global_load_b128 v[6:9], v[41:42], off offset:16
	v_writelane_b32 v164, s2, 3
	v_writelane_b32 v164, s3, 4
	s_waitcnt vmcnt(1)
	v_lshlrev_b32_e32 v26, 30, v5
	v_and_b32_e32 v133, 1, v5
	v_lshlrev_b32_e32 v27, 29, v5
	v_lshlrev_b32_e32 v28, 28, v5
	;; [unrolled: 1-line block ×7, first 2 shown]
	s_waitcnt vmcnt(0)
	v_and_b32_e32 v134, 1, v6
	v_lshlrev_b32_e32 v33, 30, v6
	v_lshlrev_b32_e32 v34, 29, v6
	;; [unrolled: 1-line block ×8, first 2 shown]
	v_and_b32_e32 v135, 1, v8
	v_lshlrev_b32_e32 v40, 30, v8
	v_lshlrev_b32_e32 v45, 29, v8
	;; [unrolled: 1-line block ×8, first 2 shown]
	s_clause 0x1
	global_load_b128 v[7:10], v[41:42], off offset:32
	global_load_b128 v[10:13], v[41:42], off offset:48
	v_lshlrev_b32_e32 v19, 30, v3
	v_lshlrev_b32_e32 v20, 29, v3
	;; [unrolled: 1-line block ×5, first 2 shown]
	v_cmp_gt_i32_e64 s0, 0, v19
	v_lshlrev_b32_e32 v24, 25, v3
	v_lshlrev_b32_e32 v25, 24, v3
	v_and_b32_e32 v2, 1, v3
	v_not_b32_e32 v19, v19
	v_writelane_b32 v164, s0, 5
	v_cmp_gt_i32_e64 s0, 0, v20
	v_not_b32_e32 v20, v20
	v_cmp_gt_i32_e64 s26, 0, v49
	v_cmp_gt_i32_e64 s27, 0, v50
	v_lshlrev_b32_e32 v3, 3, v3
	v_writelane_b32 v164, s0, 6
	v_cmp_gt_i32_e64 s0, 0, v21
	v_not_b32_e32 v21, v21
	v_ashrrev_i32_e32 v19, 31, v19
	v_ashrrev_i32_e32 v20, 31, v20
	v_add_co_u32 v133, s9, v133, -1
	v_writelane_b32 v164, s0, 7
	v_cmp_gt_i32_e64 s0, 0, v22
	v_not_b32_e32 v22, v22
	v_ashrrev_i32_e32 v21, 31, v21
	v_add_co_u32 v134, s10, v134, -1
	s_delay_alu instid0(VALU_DEP_4) | instskip(SKIP_4) | instid1(VALU_DEP_4)
	v_writelane_b32 v164, s0, 8
	v_cmp_gt_i32_e64 s0, 0, v23
	v_not_b32_e32 v23, v23
	v_ashrrev_i32_e32 v22, 31, v22
	v_add_co_u32 v135, s11, v135, -1
	v_writelane_b32 v164, s0, 9
	v_cmp_gt_i32_e64 s0, 0, v24
	v_not_b32_e32 v24, v24
	v_ashrrev_i32_e32 v23, 31, v23
	s_delay_alu instid0(VALU_DEP_3) | instskip(SKIP_3) | instid1(VALU_DEP_3)
	v_writelane_b32 v164, s0, 10
	v_cmp_gt_i32_e64 s0, 0, v25
	v_not_b32_e32 v25, v25
	v_ashrrev_i32_e32 v24, 31, v24
	v_writelane_b32 v164, s0, 11
	v_cmp_gt_i32_e64 s0, 0, v26
	v_not_b32_e32 v26, v26
	v_ashrrev_i32_e32 v25, 31, v25
	s_delay_alu instid0(VALU_DEP_3) | instskip(SKIP_3) | instid1(VALU_DEP_3)
	v_writelane_b32 v164, s0, 12
	v_cmp_gt_i32_e64 s0, 0, v27
	v_not_b32_e32 v27, v27
	v_ashrrev_i32_e32 v26, 31, v26
	;; [unrolled: 9-line block ×8, first 2 shown]
	v_writelane_b32 v164, s0, 25
	v_cmp_gt_i32_e64 s0, 0, v40
	v_not_b32_e32 v40, v40
	v_ashrrev_i32_e32 v39, 31, v39
	s_delay_alu instid0(VALU_DEP_3) | instskip(SKIP_1) | instid1(VALU_DEP_4)
	v_writelane_b32 v164, s0, 26
	v_cmp_gt_i32_e64 s0, 0, v45
	v_ashrrev_i32_e32 v40, 31, v40
	s_delay_alu instid0(VALU_DEP_2) | instskip(SKIP_1) | instid1(VALU_DEP_1)
	v_writelane_b32 v164, s0, 27
	v_cmp_gt_i32_e64 s0, 0, v46
	v_writelane_b32 v164, s0, 28
	v_cmp_gt_i32_e64 s0, 0, v47
	s_delay_alu instid0(VALU_DEP_1) | instskip(SKIP_1) | instid1(VALU_DEP_1)
	v_writelane_b32 v164, s0, 29
	v_cmp_gt_i32_e64 s0, 0, v48
	v_writelane_b32 v164, s0, 30
	s_waitcnt vmcnt(1)
	v_and_b32_e32 v137, 1, v9
	v_lshlrev_b32_e32 v58, 30, v9
	v_lshlrev_b32_e32 v59, 29, v9
	;; [unrolled: 1-line block ×8, first 2 shown]
	s_waitcnt vmcnt(0)
	v_and_b32_e32 v138, 1, v10
	v_lshlrev_b32_e32 v65, 30, v10
	v_lshlrev_b32_e32 v66, 29, v10
	;; [unrolled: 1-line block ×8, first 2 shown]
	v_and_b32_e32 v139, 1, v12
	v_lshlrev_b32_e32 v72, 30, v12
	v_lshlrev_b32_e32 v73, 29, v12
	;; [unrolled: 1-line block ×8, first 2 shown]
	s_clause 0x1
	global_load_b128 v[11:14], v[41:42], off offset:64
	global_load_b128 v[14:17], v[41:42], off offset:80
	v_lshlrev_b32_e32 v51, 30, v7
	v_lshlrev_b32_e32 v52, 29, v7
	;; [unrolled: 1-line block ×7, first 2 shown]
	v_and_b32_e32 v136, 1, v7
	v_cmp_gt_i32_e64 s28, 0, v51
	v_cmp_gt_i32_e64 s29, 0, v52
	;; [unrolled: 1-line block ×28, first 2 shown]
	v_lshlrev_b32_e32 v7, 3, v7
	v_add_co_u32 v136, s12, v136, -1
	v_add_co_u32 v137, s13, v137, -1
	v_add_co_u32 v138, s14, v138, -1
	v_add_co_u32 v139, s16, v139, -1
	s_waitcnt vmcnt(1)
	v_and_b32_e32 v141, 1, v13
	v_lshlrev_b32_e32 v86, 30, v13
	v_lshlrev_b32_e32 v87, 29, v13
	;; [unrolled: 1-line block ×8, first 2 shown]
	s_waitcnt vmcnt(0)
	v_and_b32_e32 v142, 1, v14
	v_lshlrev_b32_e32 v93, 30, v14
	v_lshlrev_b32_e32 v94, 29, v14
	;; [unrolled: 1-line block ×8, first 2 shown]
	v_and_b32_e32 v143, 1, v16
	v_lshlrev_b32_e32 v100, 30, v16
	v_lshlrev_b32_e32 v101, 29, v16
	;; [unrolled: 1-line block ×8, first 2 shown]
	s_clause 0x1
	global_load_b128 v[15:18], v[41:42], off offset:96
	global_load_b128 v[41:44], v[41:42], off offset:112
	v_lshlrev_b32_e32 v79, 30, v11
	v_lshlrev_b32_e32 v80, 29, v11
	;; [unrolled: 1-line block ×7, first 2 shown]
	v_and_b32_e32 v140, 1, v11
	s_waitcnt vmcnt(0)
	v_not_b32_e32 v42, v46
	v_not_b32_e32 v44, v48
	;; [unrolled: 1-line block ×17, first 2 shown]
	v_cmp_gt_i32_e64 s57, 0, v79
	v_cmp_gt_i32_e64 s58, 0, v80
	v_not_b32_e32 v76, v80
	v_cmp_gt_i32_e64 s59, 0, v81
	v_cmp_gt_i32_e64 s60, 0, v82
	v_not_b32_e32 v78, v82
	;; [unrolled: 3-line block ×14, first 2 shown]
	v_lshlrev_b32_e32 v11, 3, v11
	v_ashrrev_i32_e32 v42, 31, v42
	v_ashrrev_i32_e32 v44, 31, v44
	;; [unrolled: 1-line block ×31, first 2 shown]
	v_add_co_u32 v140, s17, v140, -1
	v_add_co_u32 v141, s18, v141, -1
	;; [unrolled: 1-line block ×4, first 2 shown]
	v_lshlrev_b32_e32 v107, 30, v15
	v_lshlrev_b32_e32 v155, 24, v41
	;; [unrolled: 1-line block ×6, first 2 shown]
	v_not_b32_e32 v123, v155
	v_lshlrev_b32_e32 v161, 26, v43
	v_lshlrev_b32_e32 v162, 25, v43
	v_lshlrev_b32_e32 v108, 29, v15
	v_lshlrev_b32_e32 v109, 28, v15
	v_ashrrev_i32_e32 v124, 31, v123
	v_not_b32_e32 v123, v157
	v_lshlrev_b32_e32 v110, 27, v15
	v_lshlrev_b32_e32 v111, 26, v15
	v_lshlrev_b32_e32 v112, 25, v15
	v_lshlrev_b32_e32 v113, 24, v15
	v_ashrrev_i32_e32 v125, 31, v123
	;; [unrolled: 6-line block ×5, first 2 shown]
	v_not_b32_e32 v123, v161
	v_lshlrev_b32_e32 v154, 25, v41
	v_lshlrev_b32_e32 v163, 24, v43
	v_and_b32_e32 v144, 1, v15
	v_and_b32_e32 v145, 1, v17
	v_ashrrev_i32_e32 v129, 31, v123
	v_not_b32_e32 v123, v162
	v_lshlrev_b32_e32 v16, 3, v17
	v_and_b32_e32 v148, 1, v41
	v_lshlrev_b32_e32 v17, 3, v41
	v_and_b32_e32 v156, 1, v43
	v_lshlrev_b32_e32 v18, 3, v43
	v_not_b32_e32 v41, v45
	v_not_b32_e32 v43, v47
	;; [unrolled: 1-line block ×31, first 2 shown]
	v_cmp_gt_i32_e64 s85, 0, v107
	v_not_b32_e32 v103, v107
	v_cmp_gt_i32_e64 s86, 0, v108
	v_not_b32_e32 v104, v108
	;; [unrolled: 2-line block ×11, first 2 shown]
	v_not_b32_e32 v114, v132
	v_not_b32_e32 v115, v146
	v_not_b32_e32 v116, v147
	v_not_b32_e32 v117, v149
	v_not_b32_e32 v118, v150
	v_not_b32_e32 v119, v151
	v_not_b32_e32 v120, v152
	v_not_b32_e32 v121, v153
	v_not_b32_e32 v122, v154
	v_ashrrev_i32_e32 v130, 31, v123
	v_not_b32_e32 v123, v163
	v_lshlrev_b32_e32 v15, 3, v15
	v_ashrrev_i32_e32 v41, 31, v41
	v_ashrrev_i32_e32 v43, 31, v43
	;; [unrolled: 1-line block ×52, first 2 shown]
	v_lshlrev_b32_e32 v123, 3, v0
	v_cmp_gt_i32_e64 s96, 0, v132
	v_cmp_gt_i32_e64 s97, 0, v146
	;; [unrolled: 1-line block ×9, first 2 shown]
	v_cmp_gt_i32_e64 vcc_hi, 0, v155
	v_cmp_gt_i32_e64 s15, 0, v157
	v_cmp_gt_i32_e64 s0, 0, v158
	;; [unrolled: 1-line block ×7, first 2 shown]
	v_add_co_u32 v132, s8, v2, -1
	v_add_co_u32 v144, s21, v144, -1
	;; [unrolled: 1-line block ×5, first 2 shown]
	s_branch .LBB23_2
.LBB23_1:                               ;   in Loop: Header=BB23_2 Depth=1
	s_or_b32 exec_lo, exec_lo, s7
	s_add_i32 s25, s25, -1
	s_waitcnt lgkmcnt(0)
	s_cmp_eq_u32 s25, 0
	s_barrier
	buffer_gl0_inv
	s_cbranch_scc1 .LBB23_36
.LBB23_2:                               ; =>This Inner Loop Header: Depth=1
	s_and_saveexec_b32 s7, s6
	s_cbranch_execz .LBB23_4
; %bb.3:                                ;   in Loop: Header=BB23_2 Depth=1
	v_mov_b32_e32 v2, v1
	ds_store_b64 v123, v[1:2]
.LBB23_4:                               ;   in Loop: Header=BB23_2 Depth=1
	s_or_b32 exec_lo, exec_lo, s7
	v_cndmask_b32_e64 v2, 0, 1, s8
	v_readlane_b32 s7, v164, 5
	s_waitcnt lgkmcnt(0)
	s_barrier
	buffer_gl0_inv
	v_cmp_ne_u32_e32 vcc_lo, 0, v2
	v_cndmask_b32_e64 v148, 0, 1, s7
	v_readlane_b32 s7, v164, 6
	s_delay_alu instid0(VALU_DEP_1) | instskip(NEXT) | instid1(VALU_DEP_3)
	v_cndmask_b32_e64 v2, 0, 1, s7
	v_cmp_ne_u32_e64 s7, 0, v148
	v_xor_b32_e32 v148, vcc_lo, v132
	v_readlane_b32 vcc_lo, v164, 7
	s_delay_alu instid0(VALU_DEP_2) | instskip(NEXT) | instid1(VALU_DEP_2)
	v_and_b32_e32 v148, exec_lo, v148
	v_cndmask_b32_e64 v149, 0, 1, vcc_lo
	v_cmp_ne_u32_e32 vcc_lo, 0, v2
	v_xor_b32_e32 v2, s7, v19
	v_readlane_b32 s7, v164, 8
	s_delay_alu instid0(VALU_DEP_2) | instskip(NEXT) | instid1(VALU_DEP_2)
	v_and_b32_e32 v2, v148, v2
	v_cndmask_b32_e64 v150, 0, 1, s7
	v_cmp_ne_u32_e64 s7, 0, v149
	v_xor_b32_e32 v149, vcc_lo, v20
	v_readlane_b32 vcc_lo, v164, 9
	s_delay_alu instid0(VALU_DEP_2) | instskip(NEXT) | instid1(VALU_DEP_2)
	v_and_b32_e32 v2, v2, v149
	v_cndmask_b32_e64 v148, 0, 1, vcc_lo
	v_cmp_ne_u32_e32 vcc_lo, 0, v150
	v_xor_b32_e32 v150, s7, v21
	v_readlane_b32 s7, v164, 10
	s_delay_alu instid0(VALU_DEP_2) | instskip(NEXT) | instid1(VALU_DEP_2)
	v_and_b32_e32 v2, v2, v150
	v_cndmask_b32_e64 v149, 0, 1, s7
	v_cmp_ne_u32_e64 s7, 0, v148
	v_xor_b32_e32 v148, vcc_lo, v22
	s_delay_alu instid0(VALU_DEP_3) | instskip(NEXT) | instid1(VALU_DEP_3)
	v_cmp_ne_u32_e32 vcc_lo, 0, v149
	v_xor_b32_e32 v149, s7, v23
	v_readlane_b32 s7, v164, 11
	s_delay_alu instid0(VALU_DEP_4) | instskip(SKIP_1) | instid1(VALU_DEP_3)
	v_and_b32_e32 v2, v2, v148
	v_xor_b32_e32 v150, vcc_lo, v24
	v_cndmask_b32_e64 v148, 0, 1, s7
	s_delay_alu instid0(VALU_DEP_3) | instskip(SKIP_1) | instid1(VALU_DEP_2)
	v_and_b32_e32 v2, v2, v149
	s_mov_b32 s7, exec_lo
	v_cmp_ne_u32_e32 vcc_lo, 0, v148
	s_delay_alu instid0(VALU_DEP_2) | instskip(SKIP_1) | instid1(VALU_DEP_1)
	v_and_b32_e32 v2, v2, v150
	v_xor_b32_e32 v148, vcc_lo, v25
	v_and_b32_e32 v2, v2, v148
	s_delay_alu instid0(VALU_DEP_1) | instskip(NEXT) | instid1(VALU_DEP_1)
	v_mbcnt_lo_u32_b32 v148, v2, 0
	v_cmpx_eq_u32_e32 0, v148
	s_cbranch_execz .LBB23_6
; %bb.5:                                ;   in Loop: Header=BB23_2 Depth=1
	v_bcnt_u32_b32 v148, v2, 0
	v_mov_b32_e32 v149, v1
	ds_add_u64 v3, v[148:149]
.LBB23_6:                               ;   in Loop: Header=BB23_2 Depth=1
	s_or_b32 exec_lo, exec_lo, s7
	v_cndmask_b32_e64 v2, 0, 1, s9
	v_readlane_b32 s7, v164, 12
	s_delay_alu instid0(VALU_DEP_2) | instskip(NEXT) | instid1(VALU_DEP_2)
	v_cmp_ne_u32_e32 vcc_lo, 0, v2
	v_cndmask_b32_e64 v148, 0, 1, s7
	v_readlane_b32 s7, v164, 13
	s_delay_alu instid0(VALU_DEP_1) | instskip(NEXT) | instid1(VALU_DEP_3)
	v_cndmask_b32_e64 v2, 0, 1, s7
	v_cmp_ne_u32_e64 s7, 0, v148
	v_xor_b32_e32 v148, vcc_lo, v133
	v_readlane_b32 vcc_lo, v164, 14
	s_delay_alu instid0(VALU_DEP_2) | instskip(NEXT) | instid1(VALU_DEP_2)
	v_and_b32_e32 v148, exec_lo, v148
	v_cndmask_b32_e64 v149, 0, 1, vcc_lo
	v_cmp_ne_u32_e32 vcc_lo, 0, v2
	v_xor_b32_e32 v2, s7, v26
	v_readlane_b32 s7, v164, 15
	s_delay_alu instid0(VALU_DEP_2) | instskip(NEXT) | instid1(VALU_DEP_2)
	v_and_b32_e32 v2, v148, v2
	v_cndmask_b32_e64 v150, 0, 1, s7
	v_cmp_ne_u32_e64 s7, 0, v149
	v_xor_b32_e32 v149, vcc_lo, v27
	v_readlane_b32 vcc_lo, v164, 16
	s_delay_alu instid0(VALU_DEP_2) | instskip(NEXT) | instid1(VALU_DEP_2)
	v_and_b32_e32 v2, v2, v149
	v_cndmask_b32_e64 v148, 0, 1, vcc_lo
	v_cmp_ne_u32_e32 vcc_lo, 0, v150
	v_xor_b32_e32 v150, s7, v28
	v_readlane_b32 s7, v164, 17
	s_delay_alu instid0(VALU_DEP_2) | instskip(NEXT) | instid1(VALU_DEP_2)
	v_and_b32_e32 v2, v2, v150
	v_cndmask_b32_e64 v149, 0, 1, s7
	v_cmp_ne_u32_e64 s7, 0, v148
	v_xor_b32_e32 v148, vcc_lo, v29
	s_delay_alu instid0(VALU_DEP_3) | instskip(NEXT) | instid1(VALU_DEP_3)
	v_cmp_ne_u32_e32 vcc_lo, 0, v149
	v_xor_b32_e32 v149, s7, v30
	v_readlane_b32 s7, v164, 18
	s_delay_alu instid0(VALU_DEP_4) | instskip(SKIP_1) | instid1(VALU_DEP_3)
	v_and_b32_e32 v2, v2, v148
	v_xor_b32_e32 v150, vcc_lo, v31
	v_cndmask_b32_e64 v148, 0, 1, s7
	s_delay_alu instid0(VALU_DEP_3) | instskip(SKIP_1) | instid1(VALU_DEP_2)
	v_and_b32_e32 v2, v2, v149
	s_mov_b32 s7, exec_lo
	v_cmp_ne_u32_e32 vcc_lo, 0, v148
	s_delay_alu instid0(VALU_DEP_2) | instskip(SKIP_1) | instid1(VALU_DEP_1)
	v_and_b32_e32 v2, v2, v150
	v_xor_b32_e32 v148, vcc_lo, v32
	v_and_b32_e32 v2, v2, v148
	s_delay_alu instid0(VALU_DEP_1) | instskip(NEXT) | instid1(VALU_DEP_1)
	v_mbcnt_lo_u32_b32 v148, v2, 0
	v_cmpx_eq_u32_e32 0, v148
	s_cbranch_execz .LBB23_8
; %bb.7:                                ;   in Loop: Header=BB23_2 Depth=1
	v_bcnt_u32_b32 v148, v2, 0
	v_mov_b32_e32 v149, v1
	ds_add_u64 v4, v[148:149]
.LBB23_8:                               ;   in Loop: Header=BB23_2 Depth=1
	s_or_b32 exec_lo, exec_lo, s7
	v_cndmask_b32_e64 v2, 0, 1, s10
	v_readlane_b32 s7, v164, 19
	s_delay_alu instid0(VALU_DEP_2) | instskip(NEXT) | instid1(VALU_DEP_2)
	v_cmp_ne_u32_e32 vcc_lo, 0, v2
	v_cndmask_b32_e64 v148, 0, 1, s7
	v_readlane_b32 s7, v164, 20
	s_delay_alu instid0(VALU_DEP_1) | instskip(NEXT) | instid1(VALU_DEP_3)
	v_cndmask_b32_e64 v2, 0, 1, s7
	v_cmp_ne_u32_e64 s7, 0, v148
	v_xor_b32_e32 v148, vcc_lo, v134
	v_readlane_b32 vcc_lo, v164, 21
	s_delay_alu instid0(VALU_DEP_2) | instskip(NEXT) | instid1(VALU_DEP_2)
	v_and_b32_e32 v148, exec_lo, v148
	v_cndmask_b32_e64 v149, 0, 1, vcc_lo
	v_cmp_ne_u32_e32 vcc_lo, 0, v2
	v_xor_b32_e32 v2, s7, v33
	v_readlane_b32 s7, v164, 22
	s_delay_alu instid0(VALU_DEP_2) | instskip(NEXT) | instid1(VALU_DEP_2)
	v_and_b32_e32 v2, v148, v2
	v_cndmask_b32_e64 v150, 0, 1, s7
	v_cmp_ne_u32_e64 s7, 0, v149
	v_xor_b32_e32 v149, vcc_lo, v34
	v_readlane_b32 vcc_lo, v164, 23
	s_delay_alu instid0(VALU_DEP_2) | instskip(NEXT) | instid1(VALU_DEP_2)
	v_and_b32_e32 v2, v2, v149
	v_cndmask_b32_e64 v148, 0, 1, vcc_lo
	v_cmp_ne_u32_e32 vcc_lo, 0, v150
	v_xor_b32_e32 v150, s7, v35
	v_readlane_b32 s7, v164, 24
	s_delay_alu instid0(VALU_DEP_2) | instskip(NEXT) | instid1(VALU_DEP_2)
	v_and_b32_e32 v2, v2, v150
	v_cndmask_b32_e64 v149, 0, 1, s7
	v_cmp_ne_u32_e64 s7, 0, v148
	v_xor_b32_e32 v148, vcc_lo, v36
	s_delay_alu instid0(VALU_DEP_3) | instskip(NEXT) | instid1(VALU_DEP_3)
	v_cmp_ne_u32_e32 vcc_lo, 0, v149
	v_xor_b32_e32 v149, s7, v37
	v_readlane_b32 s7, v164, 25
	s_delay_alu instid0(VALU_DEP_4) | instskip(SKIP_1) | instid1(VALU_DEP_3)
	v_and_b32_e32 v2, v2, v148
	v_xor_b32_e32 v150, vcc_lo, v38
	v_cndmask_b32_e64 v148, 0, 1, s7
	s_delay_alu instid0(VALU_DEP_3) | instskip(SKIP_1) | instid1(VALU_DEP_2)
	v_and_b32_e32 v2, v2, v149
	s_mov_b32 s7, exec_lo
	v_cmp_ne_u32_e32 vcc_lo, 0, v148
	s_delay_alu instid0(VALU_DEP_2) | instskip(SKIP_1) | instid1(VALU_DEP_1)
	v_and_b32_e32 v2, v2, v150
	v_xor_b32_e32 v148, vcc_lo, v39
	v_and_b32_e32 v2, v2, v148
	s_delay_alu instid0(VALU_DEP_1) | instskip(NEXT) | instid1(VALU_DEP_1)
	v_mbcnt_lo_u32_b32 v148, v2, 0
	v_cmpx_eq_u32_e32 0, v148
	s_cbranch_execz .LBB23_10
; %bb.9:                                ;   in Loop: Header=BB23_2 Depth=1
	v_bcnt_u32_b32 v148, v2, 0
	v_mov_b32_e32 v149, v1
	ds_add_u64 v5, v[148:149]
.LBB23_10:                              ;   in Loop: Header=BB23_2 Depth=1
	s_or_b32 exec_lo, exec_lo, s7
	v_cndmask_b32_e64 v2, 0, 1, s11
	v_readlane_b32 s7, v164, 26
	s_delay_alu instid0(VALU_DEP_2) | instskip(NEXT) | instid1(VALU_DEP_2)
	v_cmp_ne_u32_e32 vcc_lo, 0, v2
	v_cndmask_b32_e64 v148, 0, 1, s7
	v_readlane_b32 s7, v164, 27
	s_delay_alu instid0(VALU_DEP_1) | instskip(NEXT) | instid1(VALU_DEP_3)
	v_cndmask_b32_e64 v2, 0, 1, s7
	v_cmp_ne_u32_e64 s7, 0, v148
	v_xor_b32_e32 v148, vcc_lo, v135
	v_readlane_b32 vcc_lo, v164, 28
	s_delay_alu instid0(VALU_DEP_2) | instskip(NEXT) | instid1(VALU_DEP_2)
	v_and_b32_e32 v148, exec_lo, v148
	v_cndmask_b32_e64 v149, 0, 1, vcc_lo
	v_cmp_ne_u32_e32 vcc_lo, 0, v2
	v_xor_b32_e32 v2, s7, v40
	v_readlane_b32 s7, v164, 29
	s_delay_alu instid0(VALU_DEP_2) | instskip(NEXT) | instid1(VALU_DEP_2)
	v_and_b32_e32 v2, v148, v2
	v_cndmask_b32_e64 v150, 0, 1, s7
	v_cmp_ne_u32_e64 s7, 0, v149
	v_xor_b32_e32 v149, vcc_lo, v41
	v_readlane_b32 vcc_lo, v164, 30
	s_delay_alu instid0(VALU_DEP_2) | instskip(NEXT) | instid1(VALU_DEP_2)
	v_and_b32_e32 v2, v2, v149
	v_cndmask_b32_e64 v148, 0, 1, vcc_lo
	v_cmp_ne_u32_e32 vcc_lo, 0, v150
	v_xor_b32_e32 v150, s7, v42
	v_cndmask_b32_e64 v149, 0, 1, s26
	s_delay_alu instid0(VALU_DEP_4) | instskip(SKIP_1) | instid1(VALU_DEP_4)
	v_cmp_ne_u32_e64 s7, 0, v148
	v_xor_b32_e32 v148, vcc_lo, v43
	v_and_b32_e32 v2, v2, v150
	s_delay_alu instid0(VALU_DEP_4) | instskip(NEXT) | instid1(VALU_DEP_4)
	v_cmp_ne_u32_e32 vcc_lo, 0, v149
	v_xor_b32_e32 v149, s7, v44
	s_mov_b32 s7, exec_lo
	s_delay_alu instid0(VALU_DEP_3) | instskip(SKIP_2) | instid1(VALU_DEP_3)
	v_and_b32_e32 v2, v2, v148
	v_cndmask_b32_e64 v148, 0, 1, s27
	v_xor_b32_e32 v150, vcc_lo, v45
	v_and_b32_e32 v2, v2, v149
	s_delay_alu instid0(VALU_DEP_3) | instskip(NEXT) | instid1(VALU_DEP_2)
	v_cmp_ne_u32_e32 vcc_lo, 0, v148
	v_and_b32_e32 v2, v2, v150
	v_xor_b32_e32 v148, vcc_lo, v46
	s_delay_alu instid0(VALU_DEP_1) | instskip(NEXT) | instid1(VALU_DEP_1)
	v_and_b32_e32 v2, v2, v148
	v_mbcnt_lo_u32_b32 v148, v2, 0
	s_delay_alu instid0(VALU_DEP_1)
	v_cmpx_eq_u32_e32 0, v148
	s_cbranch_execz .LBB23_12
; %bb.11:                               ;   in Loop: Header=BB23_2 Depth=1
	v_bcnt_u32_b32 v148, v2, 0
	v_mov_b32_e32 v149, v1
	ds_add_u64 v6, v[148:149]
.LBB23_12:                              ;   in Loop: Header=BB23_2 Depth=1
	s_or_b32 exec_lo, exec_lo, s7
	v_cndmask_b32_e64 v2, 0, 1, s12
	v_cndmask_b32_e64 v148, 0, 1, s28
	v_cndmask_b32_e64 v149, 0, 1, s30
	v_cndmask_b32_e64 v150, 0, 1, s31
	s_delay_alu instid0(VALU_DEP_4) | instskip(SKIP_3) | instid1(VALU_DEP_3)
	v_cmp_ne_u32_e32 vcc_lo, 0, v2
	v_cndmask_b32_e64 v2, 0, 1, s29
	v_cmp_ne_u32_e64 s7, 0, v148
	v_xor_b32_e32 v148, vcc_lo, v136
	v_cmp_ne_u32_e32 vcc_lo, 0, v2
	s_delay_alu instid0(VALU_DEP_3) | instskip(SKIP_1) | instid1(VALU_DEP_4)
	v_xor_b32_e32 v2, s7, v47
	v_cmp_ne_u32_e64 s7, 0, v149
	v_and_b32_e32 v148, exec_lo, v148
	v_xor_b32_e32 v149, vcc_lo, v48
	v_cmp_ne_u32_e32 vcc_lo, 0, v150
	s_delay_alu instid0(VALU_DEP_4) | instskip(NEXT) | instid1(VALU_DEP_4)
	v_xor_b32_e32 v150, s7, v49
	v_and_b32_e32 v2, v148, v2
	v_cndmask_b32_e64 v148, 0, 1, s33
	s_delay_alu instid0(VALU_DEP_2) | instskip(SKIP_1) | instid1(VALU_DEP_3)
	v_and_b32_e32 v2, v2, v149
	v_cndmask_b32_e64 v149, 0, 1, s34
	v_cmp_ne_u32_e64 s7, 0, v148
	v_xor_b32_e32 v148, vcc_lo, v50
	s_delay_alu instid0(VALU_DEP_4) | instskip(NEXT) | instid1(VALU_DEP_4)
	v_and_b32_e32 v2, v2, v150
	v_cmp_ne_u32_e32 vcc_lo, 0, v149
	s_delay_alu instid0(VALU_DEP_4) | instskip(SKIP_1) | instid1(VALU_DEP_3)
	v_xor_b32_e32 v149, s7, v51
	s_mov_b32 s7, exec_lo
	v_and_b32_e32 v2, v2, v148
	v_cndmask_b32_e64 v148, 0, 1, s35
	v_xor_b32_e32 v150, vcc_lo, v52
	s_delay_alu instid0(VALU_DEP_3) | instskip(NEXT) | instid1(VALU_DEP_3)
	v_and_b32_e32 v2, v2, v149
	v_cmp_ne_u32_e32 vcc_lo, 0, v148
	s_delay_alu instid0(VALU_DEP_2) | instskip(SKIP_1) | instid1(VALU_DEP_1)
	v_and_b32_e32 v2, v2, v150
	v_xor_b32_e32 v148, vcc_lo, v53
	v_and_b32_e32 v2, v2, v148
	s_delay_alu instid0(VALU_DEP_1) | instskip(NEXT) | instid1(VALU_DEP_1)
	v_mbcnt_lo_u32_b32 v148, v2, 0
	v_cmpx_eq_u32_e32 0, v148
	s_cbranch_execz .LBB23_14
; %bb.13:                               ;   in Loop: Header=BB23_2 Depth=1
	v_bcnt_u32_b32 v148, v2, 0
	v_mov_b32_e32 v149, v1
	ds_add_u64 v7, v[148:149]
.LBB23_14:                              ;   in Loop: Header=BB23_2 Depth=1
	s_or_b32 exec_lo, exec_lo, s7
	v_cndmask_b32_e64 v2, 0, 1, s13
	v_cndmask_b32_e64 v148, 0, 1, s36
	v_cndmask_b32_e64 v149, 0, 1, s38
	v_cndmask_b32_e64 v150, 0, 1, s39
	s_delay_alu instid0(VALU_DEP_4) | instskip(SKIP_3) | instid1(VALU_DEP_3)
	v_cmp_ne_u32_e32 vcc_lo, 0, v2
	v_cndmask_b32_e64 v2, 0, 1, s37
	v_cmp_ne_u32_e64 s7, 0, v148
	v_xor_b32_e32 v148, vcc_lo, v137
	v_cmp_ne_u32_e32 vcc_lo, 0, v2
	s_delay_alu instid0(VALU_DEP_3) | instskip(SKIP_1) | instid1(VALU_DEP_4)
	v_xor_b32_e32 v2, s7, v54
	v_cmp_ne_u32_e64 s7, 0, v149
	v_and_b32_e32 v148, exec_lo, v148
	v_xor_b32_e32 v149, vcc_lo, v55
	v_cmp_ne_u32_e32 vcc_lo, 0, v150
	s_delay_alu instid0(VALU_DEP_4) | instskip(NEXT) | instid1(VALU_DEP_4)
	v_xor_b32_e32 v150, s7, v56
	v_and_b32_e32 v2, v148, v2
	v_cndmask_b32_e64 v148, 0, 1, s40
	s_delay_alu instid0(VALU_DEP_2) | instskip(SKIP_1) | instid1(VALU_DEP_3)
	v_and_b32_e32 v2, v2, v149
	v_cndmask_b32_e64 v149, 0, 1, s41
	v_cmp_ne_u32_e64 s7, 0, v148
	v_xor_b32_e32 v148, vcc_lo, v57
	s_delay_alu instid0(VALU_DEP_4) | instskip(NEXT) | instid1(VALU_DEP_4)
	v_and_b32_e32 v2, v2, v150
	v_cmp_ne_u32_e32 vcc_lo, 0, v149
	s_delay_alu instid0(VALU_DEP_4) | instskip(SKIP_1) | instid1(VALU_DEP_3)
	v_xor_b32_e32 v149, s7, v58
	s_mov_b32 s7, exec_lo
	v_and_b32_e32 v2, v2, v148
	v_cndmask_b32_e64 v148, 0, 1, s42
	v_xor_b32_e32 v150, vcc_lo, v59
	s_delay_alu instid0(VALU_DEP_3) | instskip(NEXT) | instid1(VALU_DEP_3)
	v_and_b32_e32 v2, v2, v149
	v_cmp_ne_u32_e32 vcc_lo, 0, v148
	s_delay_alu instid0(VALU_DEP_2) | instskip(SKIP_1) | instid1(VALU_DEP_1)
	v_and_b32_e32 v2, v2, v150
	v_xor_b32_e32 v148, vcc_lo, v60
	v_and_b32_e32 v2, v2, v148
	s_delay_alu instid0(VALU_DEP_1) | instskip(NEXT) | instid1(VALU_DEP_1)
	v_mbcnt_lo_u32_b32 v148, v2, 0
	;; [unrolled: 51-line block ×10, first 2 shown]
	v_cmpx_eq_u32_e32 0, v148
	s_cbranch_execz .LBB23_32
; %bb.31:                               ;   in Loop: Header=BB23_2 Depth=1
	v_bcnt_u32_b32 v148, v2, 0
	v_mov_b32_e32 v149, v1
	ds_add_u64 v16, v[148:149]
.LBB23_32:                              ;   in Loop: Header=BB23_2 Depth=1
	s_or_b32 exec_lo, exec_lo, s7
	v_cndmask_b32_e64 v2, 0, 1, s23
	v_cndmask_b32_e64 v148, 0, 1, s99
	;; [unrolled: 1-line block ×4, first 2 shown]
	s_delay_alu instid0(VALU_DEP_4) | instskip(SKIP_3) | instid1(VALU_DEP_3)
	v_cmp_ne_u32_e32 vcc_lo, 0, v2
	v_cndmask_b32_e64 v2, 0, 1, s100
	v_cmp_ne_u32_e64 s7, 0, v148
	v_xor_b32_e32 v148, vcc_lo, v146
	v_cmp_ne_u32_e32 vcc_lo, 0, v2
	s_delay_alu instid0(VALU_DEP_3) | instskip(SKIP_1) | instid1(VALU_DEP_4)
	v_xor_b32_e32 v2, s7, v117
	v_cmp_ne_u32_e64 s7, 0, v149
	v_and_b32_e32 v148, exec_lo, v148
	v_xor_b32_e32 v149, vcc_lo, v118
	v_cmp_ne_u32_e32 vcc_lo, 0, v150
	s_delay_alu instid0(VALU_DEP_4) | instskip(NEXT) | instid1(VALU_DEP_4)
	v_xor_b32_e32 v150, s7, v119
	v_and_b32_e32 v2, v148, v2
	v_cndmask_b32_e64 v148, 0, 1, s103
	s_delay_alu instid0(VALU_DEP_2) | instskip(SKIP_1) | instid1(VALU_DEP_3)
	v_and_b32_e32 v2, v2, v149
	v_cndmask_b32_e64 v149, 0, 1, s104
	v_cmp_ne_u32_e64 s7, 0, v148
	v_xor_b32_e32 v148, vcc_lo, v120
	s_delay_alu instid0(VALU_DEP_4) | instskip(NEXT) | instid1(VALU_DEP_4)
	v_and_b32_e32 v2, v2, v150
	v_cmp_ne_u32_e32 vcc_lo, 0, v149
	s_delay_alu instid0(VALU_DEP_4) | instskip(SKIP_1) | instid1(VALU_DEP_3)
	v_xor_b32_e32 v149, s7, v121
	s_mov_b32 s7, exec_lo
	v_and_b32_e32 v2, v2, v148
	v_cndmask_b32_e64 v148, 0, 1, vcc_hi
	v_xor_b32_e32 v150, vcc_lo, v122
	s_delay_alu instid0(VALU_DEP_3) | instskip(NEXT) | instid1(VALU_DEP_3)
	v_and_b32_e32 v2, v2, v149
	v_cmp_ne_u32_e32 vcc_lo, 0, v148
	s_delay_alu instid0(VALU_DEP_2) | instskip(SKIP_1) | instid1(VALU_DEP_1)
	v_and_b32_e32 v2, v2, v150
	v_xor_b32_e32 v148, vcc_lo, v124
	v_and_b32_e32 v2, v2, v148
	s_delay_alu instid0(VALU_DEP_1) | instskip(NEXT) | instid1(VALU_DEP_1)
	v_mbcnt_lo_u32_b32 v148, v2, 0
	v_cmpx_eq_u32_e32 0, v148
	s_cbranch_execz .LBB23_34
; %bb.33:                               ;   in Loop: Header=BB23_2 Depth=1
	v_bcnt_u32_b32 v148, v2, 0
	v_mov_b32_e32 v149, v1
	ds_add_u64 v17, v[148:149]
.LBB23_34:                              ;   in Loop: Header=BB23_2 Depth=1
	s_or_b32 exec_lo, exec_lo, s7
	v_cndmask_b32_e64 v2, 0, 1, s24
	v_cndmask_b32_e64 v148, 0, 1, s15
	;; [unrolled: 1-line block ×4, first 2 shown]
	s_delay_alu instid0(VALU_DEP_4) | instskip(SKIP_3) | instid1(VALU_DEP_3)
	v_cmp_ne_u32_e32 vcc_lo, 0, v2
	v_cndmask_b32_e64 v2, 0, 1, s0
	v_cmp_ne_u32_e64 s7, 0, v148
	v_xor_b32_e32 v148, vcc_lo, v147
	v_cmp_ne_u32_e32 vcc_lo, 0, v2
	s_delay_alu instid0(VALU_DEP_3) | instskip(SKIP_1) | instid1(VALU_DEP_4)
	v_xor_b32_e32 v2, s7, v125
	v_cmp_ne_u32_e64 s7, 0, v149
	v_and_b32_e32 v148, exec_lo, v148
	v_xor_b32_e32 v149, vcc_lo, v126
	v_cmp_ne_u32_e32 vcc_lo, 0, v150
	s_delay_alu instid0(VALU_DEP_4) | instskip(NEXT) | instid1(VALU_DEP_4)
	v_xor_b32_e32 v150, s7, v127
	v_and_b32_e32 v2, v148, v2
	v_cndmask_b32_e64 v148, 0, 1, s3
	s_delay_alu instid0(VALU_DEP_2) | instskip(SKIP_1) | instid1(VALU_DEP_3)
	v_and_b32_e32 v2, v2, v149
	v_cndmask_b32_e64 v149, 0, 1, s4
	v_cmp_ne_u32_e64 s7, 0, v148
	v_xor_b32_e32 v148, vcc_lo, v128
	s_delay_alu instid0(VALU_DEP_4) | instskip(NEXT) | instid1(VALU_DEP_4)
	v_and_b32_e32 v2, v2, v150
	v_cmp_ne_u32_e32 vcc_lo, 0, v149
	s_delay_alu instid0(VALU_DEP_4) | instskip(SKIP_1) | instid1(VALU_DEP_3)
	v_xor_b32_e32 v149, s7, v129
	s_mov_b32 s7, exec_lo
	v_and_b32_e32 v2, v2, v148
	v_cndmask_b32_e64 v148, 0, 1, s5
	v_xor_b32_e32 v150, vcc_lo, v130
	s_delay_alu instid0(VALU_DEP_3) | instskip(NEXT) | instid1(VALU_DEP_3)
	v_and_b32_e32 v2, v2, v149
	v_cmp_ne_u32_e32 vcc_lo, 0, v148
	s_delay_alu instid0(VALU_DEP_2) | instskip(SKIP_1) | instid1(VALU_DEP_1)
	v_and_b32_e32 v2, v2, v150
	v_xor_b32_e32 v148, vcc_lo, v131
	v_and_b32_e32 v2, v2, v148
	s_delay_alu instid0(VALU_DEP_1) | instskip(NEXT) | instid1(VALU_DEP_1)
	v_mbcnt_lo_u32_b32 v148, v2, 0
	v_cmpx_eq_u32_e32 0, v148
	s_cbranch_execz .LBB23_1
; %bb.35:                               ;   in Loop: Header=BB23_2 Depth=1
	v_bcnt_u32_b32 v148, v2, 0
	v_mov_b32_e32 v149, v1
	ds_add_u64 v18, v[148:149]
	s_branch .LBB23_1
.LBB23_36:
	s_and_saveexec_b32 s0, s6
	s_cbranch_execz .LBB23_38
; %bb.37:
	v_readlane_b32 s0, v164, 0
	ds_load_b64 v[1:2], v123
	v_mov_b32_e32 v4, 0
	v_lshl_or_b32 v3, s0, 8, v0
	v_readlane_b32 s0, v164, 1
	v_readlane_b32 s2, v164, 3
	;; [unrolled: 1-line block ×4, first 2 shown]
	v_lshlrev_b64 v[3:4], 3, v[3:4]
	s_delay_alu instid0(VALU_DEP_1) | instskip(NEXT) | instid1(VALU_DEP_2)
	v_add_co_u32 v3, vcc_lo, s2, v3
	v_add_co_ci_u32_e32 v4, vcc_lo, s3, v4, vcc_lo
	s_waitcnt lgkmcnt(0)
	global_store_b64 v[3:4], v[1:2], off
.LBB23_38:
	s_nop 0
	s_sendmsg sendmsg(MSG_DEALLOC_VGPRS)
	s_endpgm
	.section	.rodata,"a",@progbits
	.p2align	6, 0x0
	.amdhsa_kernel _Z6kernelI9histogramILN6hipcub23BlockHistogramAlgorithmE0EEyLj256ELj16ELj256ELj100EEvPKT0_PS4_
		.amdhsa_group_segment_fixed_size 2048
		.amdhsa_private_segment_fixed_size 0
		.amdhsa_kernarg_size 16
		.amdhsa_user_sgpr_count 15
		.amdhsa_user_sgpr_dispatch_ptr 0
		.amdhsa_user_sgpr_queue_ptr 0
		.amdhsa_user_sgpr_kernarg_segment_ptr 1
		.amdhsa_user_sgpr_dispatch_id 0
		.amdhsa_user_sgpr_private_segment_size 0
		.amdhsa_wavefront_size32 1
		.amdhsa_uses_dynamic_stack 0
		.amdhsa_enable_private_segment 0
		.amdhsa_system_sgpr_workgroup_id_x 1
		.amdhsa_system_sgpr_workgroup_id_y 0
		.amdhsa_system_sgpr_workgroup_id_z 0
		.amdhsa_system_sgpr_workgroup_info 0
		.amdhsa_system_vgpr_workitem_id 0
		.amdhsa_next_free_vgpr 165
		.amdhsa_next_free_sgpr 105
		.amdhsa_reserve_vcc 1
		.amdhsa_float_round_mode_32 0
		.amdhsa_float_round_mode_16_64 0
		.amdhsa_float_denorm_mode_32 3
		.amdhsa_float_denorm_mode_16_64 3
		.amdhsa_dx10_clamp 1
		.amdhsa_ieee_mode 1
		.amdhsa_fp16_overflow 0
		.amdhsa_workgroup_processor_mode 1
		.amdhsa_memory_ordered 1
		.amdhsa_forward_progress 0
		.amdhsa_shared_vgpr_count 0
		.amdhsa_exception_fp_ieee_invalid_op 0
		.amdhsa_exception_fp_denorm_src 0
		.amdhsa_exception_fp_ieee_div_zero 0
		.amdhsa_exception_fp_ieee_overflow 0
		.amdhsa_exception_fp_ieee_underflow 0
		.amdhsa_exception_fp_ieee_inexact 0
		.amdhsa_exception_int_div_zero 0
	.end_amdhsa_kernel
	.section	.text._Z6kernelI9histogramILN6hipcub23BlockHistogramAlgorithmE0EEyLj256ELj16ELj256ELj100EEvPKT0_PS4_,"axG",@progbits,_Z6kernelI9histogramILN6hipcub23BlockHistogramAlgorithmE0EEyLj256ELj16ELj256ELj100EEvPKT0_PS4_,comdat
.Lfunc_end23:
	.size	_Z6kernelI9histogramILN6hipcub23BlockHistogramAlgorithmE0EEyLj256ELj16ELj256ELj100EEvPKT0_PS4_, .Lfunc_end23-_Z6kernelI9histogramILN6hipcub23BlockHistogramAlgorithmE0EEyLj256ELj16ELj256ELj100EEvPKT0_PS4_
                                        ; -- End function
	.section	.AMDGPU.csdata,"",@progbits
; Kernel info:
; codeLenInByte = 7440
; NumSgprs: 107
; NumVgprs: 165
; ScratchSize: 0
; MemoryBound: 0
; FloatMode: 240
; IeeeMode: 1
; LDSByteSize: 2048 bytes/workgroup (compile time only)
; SGPRBlocks: 13
; VGPRBlocks: 20
; NumSGPRsForWavesPerEU: 107
; NumVGPRsForWavesPerEU: 165
; Occupancy: 9
; WaveLimiterHint : 0
; COMPUTE_PGM_RSRC2:SCRATCH_EN: 0
; COMPUTE_PGM_RSRC2:USER_SGPR: 15
; COMPUTE_PGM_RSRC2:TRAP_HANDLER: 0
; COMPUTE_PGM_RSRC2:TGID_X_EN: 1
; COMPUTE_PGM_RSRC2:TGID_Y_EN: 0
; COMPUTE_PGM_RSRC2:TGID_Z_EN: 0
; COMPUTE_PGM_RSRC2:TIDIG_COMP_CNT: 0
	.section	.text._Z6kernelI9histogramILN6hipcub23BlockHistogramAlgorithmE0EEyLj320ELj1ELj320ELj100EEvPKT0_PS4_,"axG",@progbits,_Z6kernelI9histogramILN6hipcub23BlockHistogramAlgorithmE0EEyLj320ELj1ELj320ELj100EEvPKT0_PS4_,comdat
	.protected	_Z6kernelI9histogramILN6hipcub23BlockHistogramAlgorithmE0EEyLj320ELj1ELj320ELj100EEvPKT0_PS4_ ; -- Begin function _Z6kernelI9histogramILN6hipcub23BlockHistogramAlgorithmE0EEyLj320ELj1ELj320ELj100EEvPKT0_PS4_
	.globl	_Z6kernelI9histogramILN6hipcub23BlockHistogramAlgorithmE0EEyLj320ELj1ELj320ELj100EEvPKT0_PS4_
	.p2align	8
	.type	_Z6kernelI9histogramILN6hipcub23BlockHistogramAlgorithmE0EEyLj320ELj1ELj320ELj100EEvPKT0_PS4_,@function
_Z6kernelI9histogramILN6hipcub23BlockHistogramAlgorithmE0EEyLj320ELj1ELj320ELj100EEvPKT0_PS4_: ; @_Z6kernelI9histogramILN6hipcub23BlockHistogramAlgorithmE0EEyLj320ELj1ELj320ELj100EEvPKT0_PS4_
; %bb.0:
	s_load_b128 s[0:3], s[0:1], 0x0
	v_mov_b32_e32 v3, 0
	v_mad_u64_u32 v[1:2], null, 0x140, s15, v[0:1]
	s_movk_i32 s4, 0x64
	s_delay_alu instid0(VALU_DEP_2) | instskip(NEXT) | instid1(VALU_DEP_1)
	v_mov_b32_e32 v2, v3
	v_lshlrev_b64 v[1:2], 3, v[1:2]
	s_waitcnt lgkmcnt(0)
	s_delay_alu instid0(VALU_DEP_1) | instskip(NEXT) | instid1(VALU_DEP_2)
	v_add_co_u32 v4, vcc_lo, s0, v1
	v_add_co_ci_u32_e32 v5, vcc_lo, s1, v2, vcc_lo
	v_cmp_gt_u32_e32 vcc_lo, 0x140, v0
	v_lshlrev_b32_e32 v0, 3, v0
	global_load_b32 v4, v[4:5], off
	s_waitcnt vmcnt(0)
	v_lshlrev_b32_e32 v9, 29, v4
	v_and_b32_e32 v6, 1, v4
	v_lshlrev_b32_e32 v8, 30, v4
	v_lshlrev_b32_e32 v10, 28, v4
	;; [unrolled: 1-line block ×4, first 2 shown]
	v_add_co_u32 v6, s0, v6, -1
	s_delay_alu instid0(VALU_DEP_1)
	v_cndmask_b32_e64 v7, 0, 1, s0
	v_cmp_gt_i32_e64 s0, 0, v8
	v_lshlrev_b32_e32 v13, 25, v4
	v_lshlrev_b32_e32 v14, 24, v4
	;; [unrolled: 1-line block ×4, first 2 shown]
	v_not_b32_e32 v4, v8
	v_cndmask_b32_e64 v8, 0, 1, s0
	v_cmp_gt_i32_e64 s0, 0, v9
	v_not_b32_e32 v16, v9
	v_not_b32_e32 v17, v10
	;; [unrolled: 1-line block ×4, first 2 shown]
	v_cndmask_b32_e64 v9, 0, 1, s0
	v_cmp_gt_i32_e64 s0, 0, v10
	v_not_b32_e32 v20, v13
	v_not_b32_e32 v21, v14
	;; [unrolled: 1-line block ×3, first 2 shown]
	v_ashrrev_i32_e32 v15, 31, v4
	v_cndmask_b32_e64 v10, 0, 1, s0
	v_cmp_gt_i32_e64 s0, 0, v11
	v_ashrrev_i32_e32 v16, 31, v16
	v_ashrrev_i32_e32 v17, 31, v17
	;; [unrolled: 1-line block ×4, first 2 shown]
	v_cndmask_b32_e64 v11, 0, 1, s0
	v_cmp_gt_i32_e64 s0, 0, v12
	v_ashrrev_i32_e32 v20, 31, v20
	v_ashrrev_i32_e32 v21, 31, v21
	;; [unrolled: 1-line block ×3, first 2 shown]
	s_delay_alu instid0(VALU_DEP_4) | instskip(SKIP_1) | instid1(VALU_DEP_1)
	v_cndmask_b32_e64 v12, 0, 1, s0
	v_cmp_gt_i32_e64 s0, 0, v13
	v_cndmask_b32_e64 v13, 0, 1, s0
	v_cmp_gt_i32_e64 s0, 0, v14
	s_delay_alu instid0(VALU_DEP_1) | instskip(SKIP_1) | instid1(VALU_DEP_1)
	v_cndmask_b32_e64 v14, 0, 1, s0
	v_cmp_gt_i32_e64 s0, 0, v23
	v_cndmask_b32_e64 v23, 0, 1, s0
	s_branch .LBB24_2
.LBB24_1:                               ;   in Loop: Header=BB24_2 Depth=1
	s_or_b32 exec_lo, exec_lo, s1
	s_add_i32 s4, s4, -1
	s_waitcnt lgkmcnt(0)
	s_cmp_lg_u32 s4, 0
	s_barrier
	buffer_gl0_inv
	s_cbranch_scc0 .LBB24_6
.LBB24_2:                               ; =>This Inner Loop Header: Depth=1
	s_and_saveexec_b32 s0, vcc_lo
	s_cbranch_execz .LBB24_4
; %bb.3:                                ;   in Loop: Header=BB24_2 Depth=1
	v_mov_b32_e32 v4, v3
	ds_store_b64 v0, v[3:4]
.LBB24_4:                               ;   in Loop: Header=BB24_2 Depth=1
	s_or_b32 exec_lo, exec_lo, s0
	v_cmp_ne_u32_e64 s0, 0, v7
	v_cmp_ne_u32_e64 s1, 0, v8
	s_waitcnt lgkmcnt(0)
	s_barrier
	buffer_gl0_inv
	v_xor_b32_e32 v4, s0, v6
	v_cmp_ne_u32_e64 s0, 0, v9
	v_xor_b32_e32 v24, s1, v15
	v_cmp_ne_u32_e64 s1, 0, v10
	s_delay_alu instid0(VALU_DEP_4) | instskip(NEXT) | instid1(VALU_DEP_4)
	v_and_b32_e32 v4, exec_lo, v4
	v_xor_b32_e32 v25, s0, v16
	v_cmp_ne_u32_e64 s0, 0, v11
	s_delay_alu instid0(VALU_DEP_3) | instskip(SKIP_2) | instid1(VALU_DEP_3)
	v_and_b32_e32 v4, v4, v24
	v_xor_b32_e32 v24, s1, v17
	v_cmp_ne_u32_e64 s1, 0, v12
	v_and_b32_e32 v4, v4, v25
	v_xor_b32_e32 v25, s0, v18
	v_cmp_ne_u32_e64 s0, 0, v13
	s_delay_alu instid0(VALU_DEP_3) | instskip(SKIP_2) | instid1(VALU_DEP_3)
	v_and_b32_e32 v4, v4, v24
	v_xor_b32_e32 v24, s1, v19
	v_cmp_ne_u32_e64 s1, 0, v14
	v_and_b32_e32 v4, v4, v25
	v_xor_b32_e32 v25, s0, v20
	v_cmp_ne_u32_e64 s0, 0, v23
	s_delay_alu instid0(VALU_DEP_3) | instskip(SKIP_2) | instid1(VALU_DEP_2)
	v_and_b32_e32 v4, v4, v24
	v_xor_b32_e32 v24, s1, v21
	s_mov_b32 s1, exec_lo
	v_and_b32_e32 v4, v4, v25
	s_delay_alu instid0(VALU_DEP_1) | instskip(SKIP_1) | instid1(VALU_DEP_1)
	v_and_b32_e32 v4, v4, v24
	v_xor_b32_e32 v24, s0, v22
	v_and_b32_e32 v4, v4, v24
	s_delay_alu instid0(VALU_DEP_1) | instskip(NEXT) | instid1(VALU_DEP_1)
	v_mbcnt_lo_u32_b32 v24, v4, 0
	v_cmpx_eq_u32_e32 0, v24
	s_cbranch_execz .LBB24_1
; %bb.5:                                ;   in Loop: Header=BB24_2 Depth=1
	v_bcnt_u32_b32 v24, v4, 0
	v_mov_b32_e32 v25, v3
	ds_add_u64 v5, v[24:25]
	s_branch .LBB24_1
.LBB24_6:
	s_and_saveexec_b32 s0, vcc_lo
	s_cbranch_execz .LBB24_8
; %bb.7:
	ds_load_b64 v[3:4], v0
	v_add_co_u32 v0, vcc_lo, s2, v1
	v_add_co_ci_u32_e32 v1, vcc_lo, s3, v2, vcc_lo
	s_waitcnt lgkmcnt(0)
	global_store_b64 v[0:1], v[3:4], off
.LBB24_8:
	s_nop 0
	s_sendmsg sendmsg(MSG_DEALLOC_VGPRS)
	s_endpgm
	.section	.rodata,"a",@progbits
	.p2align	6, 0x0
	.amdhsa_kernel _Z6kernelI9histogramILN6hipcub23BlockHistogramAlgorithmE0EEyLj320ELj1ELj320ELj100EEvPKT0_PS4_
		.amdhsa_group_segment_fixed_size 2560
		.amdhsa_private_segment_fixed_size 0
		.amdhsa_kernarg_size 16
		.amdhsa_user_sgpr_count 15
		.amdhsa_user_sgpr_dispatch_ptr 0
		.amdhsa_user_sgpr_queue_ptr 0
		.amdhsa_user_sgpr_kernarg_segment_ptr 1
		.amdhsa_user_sgpr_dispatch_id 0
		.amdhsa_user_sgpr_private_segment_size 0
		.amdhsa_wavefront_size32 1
		.amdhsa_uses_dynamic_stack 0
		.amdhsa_enable_private_segment 0
		.amdhsa_system_sgpr_workgroup_id_x 1
		.amdhsa_system_sgpr_workgroup_id_y 0
		.amdhsa_system_sgpr_workgroup_id_z 0
		.amdhsa_system_sgpr_workgroup_info 0
		.amdhsa_system_vgpr_workitem_id 0
		.amdhsa_next_free_vgpr 26
		.amdhsa_next_free_sgpr 16
		.amdhsa_reserve_vcc 1
		.amdhsa_float_round_mode_32 0
		.amdhsa_float_round_mode_16_64 0
		.amdhsa_float_denorm_mode_32 3
		.amdhsa_float_denorm_mode_16_64 3
		.amdhsa_dx10_clamp 1
		.amdhsa_ieee_mode 1
		.amdhsa_fp16_overflow 0
		.amdhsa_workgroup_processor_mode 1
		.amdhsa_memory_ordered 1
		.amdhsa_forward_progress 0
		.amdhsa_shared_vgpr_count 0
		.amdhsa_exception_fp_ieee_invalid_op 0
		.amdhsa_exception_fp_denorm_src 0
		.amdhsa_exception_fp_ieee_div_zero 0
		.amdhsa_exception_fp_ieee_overflow 0
		.amdhsa_exception_fp_ieee_underflow 0
		.amdhsa_exception_fp_ieee_inexact 0
		.amdhsa_exception_int_div_zero 0
	.end_amdhsa_kernel
	.section	.text._Z6kernelI9histogramILN6hipcub23BlockHistogramAlgorithmE0EEyLj320ELj1ELj320ELj100EEvPKT0_PS4_,"axG",@progbits,_Z6kernelI9histogramILN6hipcub23BlockHistogramAlgorithmE0EEyLj320ELj1ELj320ELj100EEvPKT0_PS4_,comdat
.Lfunc_end24:
	.size	_Z6kernelI9histogramILN6hipcub23BlockHistogramAlgorithmE0EEyLj320ELj1ELj320ELj100EEvPKT0_PS4_, .Lfunc_end24-_Z6kernelI9histogramILN6hipcub23BlockHistogramAlgorithmE0EEyLj320ELj1ELj320ELj100EEvPKT0_PS4_
                                        ; -- End function
	.section	.AMDGPU.csdata,"",@progbits
; Kernel info:
; codeLenInByte = 688
; NumSgprs: 18
; NumVgprs: 26
; ScratchSize: 0
; MemoryBound: 0
; FloatMode: 240
; IeeeMode: 1
; LDSByteSize: 2560 bytes/workgroup (compile time only)
; SGPRBlocks: 2
; VGPRBlocks: 3
; NumSGPRsForWavesPerEU: 18
; NumVGPRsForWavesPerEU: 26
; Occupancy: 15
; WaveLimiterHint : 0
; COMPUTE_PGM_RSRC2:SCRATCH_EN: 0
; COMPUTE_PGM_RSRC2:USER_SGPR: 15
; COMPUTE_PGM_RSRC2:TRAP_HANDLER: 0
; COMPUTE_PGM_RSRC2:TGID_X_EN: 1
; COMPUTE_PGM_RSRC2:TGID_Y_EN: 0
; COMPUTE_PGM_RSRC2:TGID_Z_EN: 0
; COMPUTE_PGM_RSRC2:TIDIG_COMP_CNT: 0
	.section	.text._Z6kernelI9histogramILN6hipcub23BlockHistogramAlgorithmE0EEyLj320ELj2ELj320ELj100EEvPKT0_PS4_,"axG",@progbits,_Z6kernelI9histogramILN6hipcub23BlockHistogramAlgorithmE0EEyLj320ELj2ELj320ELj100EEvPKT0_PS4_,comdat
	.protected	_Z6kernelI9histogramILN6hipcub23BlockHistogramAlgorithmE0EEyLj320ELj2ELj320ELj100EEvPKT0_PS4_ ; -- Begin function _Z6kernelI9histogramILN6hipcub23BlockHistogramAlgorithmE0EEyLj320ELj2ELj320ELj100EEvPKT0_PS4_
	.globl	_Z6kernelI9histogramILN6hipcub23BlockHistogramAlgorithmE0EEyLj320ELj2ELj320ELj100EEvPKT0_PS4_
	.p2align	8
	.type	_Z6kernelI9histogramILN6hipcub23BlockHistogramAlgorithmE0EEyLj320ELj2ELj320ELj100EEvPKT0_PS4_,@function
_Z6kernelI9histogramILN6hipcub23BlockHistogramAlgorithmE0EEyLj320ELj2ELj320ELj100EEvPKT0_PS4_: ; @_Z6kernelI9histogramILN6hipcub23BlockHistogramAlgorithmE0EEyLj320ELj2ELj320ELj100EEvPKT0_PS4_
; %bb.0:
	s_load_b128 s[0:3], s[0:1], 0x0
	v_mad_u64_u32 v[1:2], null, 0x140, s15, v[0:1]
	v_mov_b32_e32 v2, 0
	s_movk_i32 s4, 0x64
	s_delay_alu instid0(VALU_DEP_1) | instskip(NEXT) | instid1(VALU_DEP_1)
	v_dual_mov_b32 v4, v2 :: v_dual_lshlrev_b32 v3, 1, v1
	v_lshlrev_b64 v[3:4], 3, v[3:4]
	s_waitcnt lgkmcnt(0)
	s_delay_alu instid0(VALU_DEP_1) | instskip(NEXT) | instid1(VALU_DEP_2)
	v_add_co_u32 v3, vcc_lo, s0, v3
	v_add_co_ci_u32_e32 v4, vcc_lo, s1, v4, vcc_lo
	v_cmp_gt_u32_e32 vcc_lo, 0x140, v0
	v_lshlrev_b32_e32 v0, 3, v0
	global_load_b128 v[3:6], v[3:4], off
	s_waitcnt vmcnt(0)
	v_lshlrev_b32_e32 v9, 29, v3
	v_and_b32_e32 v6, 1, v3
	v_lshlrev_b32_e32 v8, 30, v3
	v_lshlrev_b32_e32 v10, 28, v3
	;; [unrolled: 1-line block ×4, first 2 shown]
	v_add_co_u32 v6, s0, v6, -1
	s_delay_alu instid0(VALU_DEP_1)
	v_cndmask_b32_e64 v7, 0, 1, s0
	v_cmp_gt_i32_e64 s0, 0, v8
	v_lshlrev_b32_e32 v13, 25, v3
	v_lshlrev_b32_e32 v14, 24, v3
	;; [unrolled: 1-line block ×4, first 2 shown]
	v_not_b32_e32 v3, v8
	v_cndmask_b32_e64 v8, 0, 1, s0
	v_cmp_gt_i32_e64 s0, 0, v9
	v_not_b32_e32 v26, v9
	v_not_b32_e32 v27, v10
	;; [unrolled: 1-line block ×4, first 2 shown]
	v_cndmask_b32_e64 v9, 0, 1, s0
	v_cmp_gt_i32_e64 s0, 0, v10
	v_not_b32_e32 v30, v13
	v_and_b32_e32 v16, 1, v5
	v_not_b32_e32 v31, v14
	v_lshlrev_b32_e32 v18, 30, v5
	v_cndmask_b32_e64 v10, 0, 1, s0
	v_cmp_gt_i32_e64 s0, 0, v11
	v_not_b32_e32 v32, v15
	v_lshlrev_b32_e32 v19, 29, v5
	v_lshlrev_b32_e32 v20, 28, v5
	v_not_b32_e32 v33, v18
	v_cndmask_b32_e64 v11, 0, 1, s0
	v_cmp_gt_i32_e64 s0, 0, v12
	v_lshlrev_b32_e32 v21, 27, v5
	v_not_b32_e32 v34, v19
	v_lshlrev_b32_e32 v22, 26, v5
	v_not_b32_e32 v35, v20
	v_cndmask_b32_e64 v12, 0, 1, s0
	v_cmp_gt_i32_e64 s0, 0, v13
	v_lshlrev_b32_e32 v23, 25, v5
	v_not_b32_e32 v36, v21
	;; [unrolled: 6-line block ×3, first 2 shown]
	v_not_b32_e32 v39, v24
	v_lshlrev_b32_e32 v5, 3, v5
	v_cndmask_b32_e64 v14, 0, 1, s0
	v_cmp_gt_i32_e64 s0, 0, v15
	v_not_b32_e32 v40, v41
	v_ashrrev_i32_e32 v25, 31, v3
	v_ashrrev_i32_e32 v26, 31, v26
	v_ashrrev_i32_e32 v27, 31, v27
	v_cndmask_b32_e64 v15, 0, 1, s0
	v_add_co_u32 v16, s0, v16, -1
	s_delay_alu instid0(VALU_DEP_1)
	v_cndmask_b32_e64 v17, 0, 1, s0
	v_cmp_gt_i32_e64 s0, 0, v18
	v_ashrrev_i32_e32 v28, 31, v28
	v_ashrrev_i32_e32 v29, 31, v29
	v_ashrrev_i32_e32 v30, 31, v30
	v_ashrrev_i32_e32 v31, 31, v31
	v_cndmask_b32_e64 v18, 0, 1, s0
	v_cmp_gt_i32_e64 s0, 0, v19
	v_ashrrev_i32_e32 v32, 31, v32
	v_ashrrev_i32_e32 v33, 31, v33
	v_ashrrev_i32_e32 v34, 31, v34
	v_ashrrev_i32_e32 v35, 31, v35
	;; [unrolled: 6-line block ×3, first 2 shown]
	v_cndmask_b32_e64 v20, 0, 1, s0
	v_cmp_gt_i32_e64 s0, 0, v21
	v_ashrrev_i32_e32 v40, 31, v40
	s_delay_alu instid0(VALU_DEP_2) | instskip(SKIP_1) | instid1(VALU_DEP_1)
	v_cndmask_b32_e64 v21, 0, 1, s0
	v_cmp_gt_i32_e64 s0, 0, v22
	v_cndmask_b32_e64 v22, 0, 1, s0
	v_cmp_gt_i32_e64 s0, 0, v23
	s_delay_alu instid0(VALU_DEP_1) | instskip(SKIP_1) | instid1(VALU_DEP_1)
	v_cndmask_b32_e64 v23, 0, 1, s0
	v_cmp_gt_i32_e64 s0, 0, v24
	v_cndmask_b32_e64 v24, 0, 1, s0
	v_cmp_gt_i32_e64 s0, 0, v41
	s_delay_alu instid0(VALU_DEP_1)
	v_cndmask_b32_e64 v41, 0, 1, s0
	s_branch .LBB25_2
.LBB25_1:                               ;   in Loop: Header=BB25_2 Depth=1
	s_or_b32 exec_lo, exec_lo, s1
	s_add_i32 s4, s4, -1
	s_waitcnt lgkmcnt(0)
	s_cmp_lg_u32 s4, 0
	s_barrier
	buffer_gl0_inv
	s_cbranch_scc0 .LBB25_8
.LBB25_2:                               ; =>This Inner Loop Header: Depth=1
	s_and_saveexec_b32 s0, vcc_lo
	s_cbranch_execz .LBB25_4
; %bb.3:                                ;   in Loop: Header=BB25_2 Depth=1
	v_mov_b32_e32 v3, v2
	ds_store_b64 v0, v[2:3]
.LBB25_4:                               ;   in Loop: Header=BB25_2 Depth=1
	s_or_b32 exec_lo, exec_lo, s0
	v_cmp_ne_u32_e64 s0, 0, v7
	v_cmp_ne_u32_e64 s1, 0, v8
	s_waitcnt lgkmcnt(0)
	s_barrier
	buffer_gl0_inv
	v_xor_b32_e32 v3, s0, v6
	v_cmp_ne_u32_e64 s0, 0, v9
	v_xor_b32_e32 v42, s1, v25
	v_cmp_ne_u32_e64 s1, 0, v10
	s_delay_alu instid0(VALU_DEP_4) | instskip(NEXT) | instid1(VALU_DEP_4)
	v_and_b32_e32 v3, exec_lo, v3
	v_xor_b32_e32 v43, s0, v26
	v_cmp_ne_u32_e64 s0, 0, v11
	s_delay_alu instid0(VALU_DEP_3) | instskip(SKIP_2) | instid1(VALU_DEP_3)
	v_and_b32_e32 v3, v3, v42
	v_xor_b32_e32 v42, s1, v27
	v_cmp_ne_u32_e64 s1, 0, v12
	v_and_b32_e32 v3, v3, v43
	v_xor_b32_e32 v43, s0, v28
	v_cmp_ne_u32_e64 s0, 0, v13
	s_delay_alu instid0(VALU_DEP_3) | instskip(SKIP_2) | instid1(VALU_DEP_3)
	v_and_b32_e32 v3, v3, v42
	v_xor_b32_e32 v42, s1, v29
	v_cmp_ne_u32_e64 s1, 0, v14
	v_and_b32_e32 v3, v3, v43
	v_xor_b32_e32 v43, s0, v30
	v_cmp_ne_u32_e64 s0, 0, v15
	s_delay_alu instid0(VALU_DEP_3) | instskip(SKIP_2) | instid1(VALU_DEP_2)
	v_and_b32_e32 v3, v3, v42
	v_xor_b32_e32 v42, s1, v31
	s_mov_b32 s1, exec_lo
	v_and_b32_e32 v3, v3, v43
	s_delay_alu instid0(VALU_DEP_1) | instskip(SKIP_1) | instid1(VALU_DEP_1)
	v_and_b32_e32 v3, v3, v42
	v_xor_b32_e32 v42, s0, v32
	v_and_b32_e32 v3, v3, v42
	s_delay_alu instid0(VALU_DEP_1) | instskip(NEXT) | instid1(VALU_DEP_1)
	v_mbcnt_lo_u32_b32 v42, v3, 0
	v_cmpx_eq_u32_e32 0, v42
	s_cbranch_execz .LBB25_6
; %bb.5:                                ;   in Loop: Header=BB25_2 Depth=1
	v_bcnt_u32_b32 v42, v3, 0
	v_mov_b32_e32 v43, v2
	ds_add_u64 v4, v[42:43]
.LBB25_6:                               ;   in Loop: Header=BB25_2 Depth=1
	s_or_b32 exec_lo, exec_lo, s1
	v_cmp_ne_u32_e64 s0, 0, v17
	v_cmp_ne_u32_e64 s1, 0, v18
	s_delay_alu instid0(VALU_DEP_2) | instskip(SKIP_1) | instid1(VALU_DEP_3)
	v_xor_b32_e32 v3, s0, v16
	v_cmp_ne_u32_e64 s0, 0, v19
	v_xor_b32_e32 v42, s1, v33
	v_cmp_ne_u32_e64 s1, 0, v20
	s_delay_alu instid0(VALU_DEP_4) | instskip(NEXT) | instid1(VALU_DEP_4)
	v_and_b32_e32 v3, exec_lo, v3
	v_xor_b32_e32 v43, s0, v34
	v_cmp_ne_u32_e64 s0, 0, v21
	s_delay_alu instid0(VALU_DEP_3) | instskip(SKIP_2) | instid1(VALU_DEP_3)
	v_and_b32_e32 v3, v3, v42
	v_xor_b32_e32 v42, s1, v35
	v_cmp_ne_u32_e64 s1, 0, v22
	v_and_b32_e32 v3, v3, v43
	v_xor_b32_e32 v43, s0, v36
	v_cmp_ne_u32_e64 s0, 0, v23
	s_delay_alu instid0(VALU_DEP_3) | instskip(SKIP_2) | instid1(VALU_DEP_3)
	v_and_b32_e32 v3, v3, v42
	v_xor_b32_e32 v42, s1, v37
	v_cmp_ne_u32_e64 s1, 0, v24
	v_and_b32_e32 v3, v3, v43
	v_xor_b32_e32 v43, s0, v38
	v_cmp_ne_u32_e64 s0, 0, v41
	s_delay_alu instid0(VALU_DEP_3) | instskip(SKIP_2) | instid1(VALU_DEP_2)
	v_and_b32_e32 v3, v3, v42
	v_xor_b32_e32 v42, s1, v39
	s_mov_b32 s1, exec_lo
	v_and_b32_e32 v3, v3, v43
	s_delay_alu instid0(VALU_DEP_1) | instskip(SKIP_1) | instid1(VALU_DEP_1)
	v_and_b32_e32 v3, v3, v42
	v_xor_b32_e32 v42, s0, v40
	v_and_b32_e32 v3, v3, v42
	s_delay_alu instid0(VALU_DEP_1) | instskip(NEXT) | instid1(VALU_DEP_1)
	v_mbcnt_lo_u32_b32 v42, v3, 0
	v_cmpx_eq_u32_e32 0, v42
	s_cbranch_execz .LBB25_1
; %bb.7:                                ;   in Loop: Header=BB25_2 Depth=1
	v_bcnt_u32_b32 v42, v3, 0
	v_mov_b32_e32 v43, v2
	ds_add_u64 v5, v[42:43]
	s_branch .LBB25_1
.LBB25_8:
	s_and_saveexec_b32 s0, vcc_lo
	s_cbranch_execz .LBB25_10
; %bb.9:
	ds_load_b64 v[3:4], v0
	v_mov_b32_e32 v2, 0
	s_delay_alu instid0(VALU_DEP_1) | instskip(NEXT) | instid1(VALU_DEP_1)
	v_lshlrev_b64 v[0:1], 3, v[1:2]
	v_add_co_u32 v0, vcc_lo, s2, v0
	s_delay_alu instid0(VALU_DEP_2)
	v_add_co_ci_u32_e32 v1, vcc_lo, s3, v1, vcc_lo
	s_waitcnt lgkmcnt(0)
	global_store_b64 v[0:1], v[3:4], off
.LBB25_10:
	s_nop 0
	s_sendmsg sendmsg(MSG_DEALLOC_VGPRS)
	s_endpgm
	.section	.rodata,"a",@progbits
	.p2align	6, 0x0
	.amdhsa_kernel _Z6kernelI9histogramILN6hipcub23BlockHistogramAlgorithmE0EEyLj320ELj2ELj320ELj100EEvPKT0_PS4_
		.amdhsa_group_segment_fixed_size 2560
		.amdhsa_private_segment_fixed_size 0
		.amdhsa_kernarg_size 16
		.amdhsa_user_sgpr_count 15
		.amdhsa_user_sgpr_dispatch_ptr 0
		.amdhsa_user_sgpr_queue_ptr 0
		.amdhsa_user_sgpr_kernarg_segment_ptr 1
		.amdhsa_user_sgpr_dispatch_id 0
		.amdhsa_user_sgpr_private_segment_size 0
		.amdhsa_wavefront_size32 1
		.amdhsa_uses_dynamic_stack 0
		.amdhsa_enable_private_segment 0
		.amdhsa_system_sgpr_workgroup_id_x 1
		.amdhsa_system_sgpr_workgroup_id_y 0
		.amdhsa_system_sgpr_workgroup_id_z 0
		.amdhsa_system_sgpr_workgroup_info 0
		.amdhsa_system_vgpr_workitem_id 0
		.amdhsa_next_free_vgpr 44
		.amdhsa_next_free_sgpr 16
		.amdhsa_reserve_vcc 1
		.amdhsa_float_round_mode_32 0
		.amdhsa_float_round_mode_16_64 0
		.amdhsa_float_denorm_mode_32 3
		.amdhsa_float_denorm_mode_16_64 3
		.amdhsa_dx10_clamp 1
		.amdhsa_ieee_mode 1
		.amdhsa_fp16_overflow 0
		.amdhsa_workgroup_processor_mode 1
		.amdhsa_memory_ordered 1
		.amdhsa_forward_progress 0
		.amdhsa_shared_vgpr_count 0
		.amdhsa_exception_fp_ieee_invalid_op 0
		.amdhsa_exception_fp_denorm_src 0
		.amdhsa_exception_fp_ieee_div_zero 0
		.amdhsa_exception_fp_ieee_overflow 0
		.amdhsa_exception_fp_ieee_underflow 0
		.amdhsa_exception_fp_ieee_inexact 0
		.amdhsa_exception_int_div_zero 0
	.end_amdhsa_kernel
	.section	.text._Z6kernelI9histogramILN6hipcub23BlockHistogramAlgorithmE0EEyLj320ELj2ELj320ELj100EEvPKT0_PS4_,"axG",@progbits,_Z6kernelI9histogramILN6hipcub23BlockHistogramAlgorithmE0EEyLj320ELj2ELj320ELj100EEvPKT0_PS4_,comdat
.Lfunc_end25:
	.size	_Z6kernelI9histogramILN6hipcub23BlockHistogramAlgorithmE0EEyLj320ELj2ELj320ELj100EEvPKT0_PS4_, .Lfunc_end25-_Z6kernelI9histogramILN6hipcub23BlockHistogramAlgorithmE0EEyLj320ELj2ELj320ELj100EEvPKT0_PS4_
                                        ; -- End function
	.section	.AMDGPU.csdata,"",@progbits
; Kernel info:
; codeLenInByte = 1184
; NumSgprs: 18
; NumVgprs: 44
; ScratchSize: 0
; MemoryBound: 0
; FloatMode: 240
; IeeeMode: 1
; LDSByteSize: 2560 bytes/workgroup (compile time only)
; SGPRBlocks: 2
; VGPRBlocks: 5
; NumSGPRsForWavesPerEU: 18
; NumVGPRsForWavesPerEU: 44
; Occupancy: 15
; WaveLimiterHint : 0
; COMPUTE_PGM_RSRC2:SCRATCH_EN: 0
; COMPUTE_PGM_RSRC2:USER_SGPR: 15
; COMPUTE_PGM_RSRC2:TRAP_HANDLER: 0
; COMPUTE_PGM_RSRC2:TGID_X_EN: 1
; COMPUTE_PGM_RSRC2:TGID_Y_EN: 0
; COMPUTE_PGM_RSRC2:TGID_Z_EN: 0
; COMPUTE_PGM_RSRC2:TIDIG_COMP_CNT: 0
	.section	.text._Z6kernelI9histogramILN6hipcub23BlockHistogramAlgorithmE0EEyLj320ELj3ELj320ELj100EEvPKT0_PS4_,"axG",@progbits,_Z6kernelI9histogramILN6hipcub23BlockHistogramAlgorithmE0EEyLj320ELj3ELj320ELj100EEvPKT0_PS4_,comdat
	.protected	_Z6kernelI9histogramILN6hipcub23BlockHistogramAlgorithmE0EEyLj320ELj3ELj320ELj100EEvPKT0_PS4_ ; -- Begin function _Z6kernelI9histogramILN6hipcub23BlockHistogramAlgorithmE0EEyLj320ELj3ELj320ELj100EEvPKT0_PS4_
	.globl	_Z6kernelI9histogramILN6hipcub23BlockHistogramAlgorithmE0EEyLj320ELj3ELj320ELj100EEvPKT0_PS4_
	.p2align	8
	.type	_Z6kernelI9histogramILN6hipcub23BlockHistogramAlgorithmE0EEyLj320ELj3ELj320ELj100EEvPKT0_PS4_,@function
_Z6kernelI9histogramILN6hipcub23BlockHistogramAlgorithmE0EEyLj320ELj3ELj320ELj100EEvPKT0_PS4_: ; @_Z6kernelI9histogramILN6hipcub23BlockHistogramAlgorithmE0EEyLj320ELj3ELj320ELj100EEvPKT0_PS4_
; %bb.0:
	s_load_b128 s[8:11], s[0:1], 0x0
	v_mad_u64_u32 v[1:2], null, 0x140, s15, v[0:1]
	v_mov_b32_e32 v2, 0
	s_delay_alu instid0(VALU_DEP_1) | instskip(NEXT) | instid1(VALU_DEP_3)
	v_mov_b32_e32 v4, v2
	v_lshl_add_u32 v3, v1, 1, v1
	s_delay_alu instid0(VALU_DEP_1) | instskip(SKIP_2) | instid1(VALU_DEP_2)
	v_lshlrev_b64 v[4:5], 3, v[3:4]
	v_add_nc_u32_e32 v6, 1, v3
	s_waitcnt lgkmcnt(0)
	v_add_co_u32 v4, vcc_lo, s8, v4
	s_delay_alu instid0(VALU_DEP_3)
	v_add_co_ci_u32_e32 v5, vcc_lo, s9, v5, vcc_lo
	global_load_b32 v8, v[4:5], off
	s_waitcnt vmcnt(0)
	v_lshlrev_b32_e32 v11, 29, v8
	v_and_b32_e32 v9, 1, v8
	v_dual_mov_b32 v7, v2 :: v_dual_lshlrev_b32 v10, 30, v8
	v_lshlrev_b32_e32 v12, 28, v8
	v_lshlrev_b32_e32 v13, 27, v8
	;; [unrolled: 1-line block ×3, first 2 shown]
	s_delay_alu instid0(VALU_DEP_4)
	v_lshlrev_b64 v[4:5], 3, v[6:7]
	v_add_nc_u32_e32 v6, 2, v3
	v_lshlrev_b32_e32 v15, 25, v8
	v_lshlrev_b32_e32 v16, 24, v8
	;; [unrolled: 1-line block ×3, first 2 shown]
	v_not_b32_e32 v18, v10
	v_add_co_u32 v3, vcc_lo, s8, v4
	v_add_co_ci_u32_e32 v4, vcc_lo, s9, v5, vcc_lo
	v_lshlrev_b64 v[5:6], 3, v[6:7]
	v_not_b32_e32 v19, v11
	v_not_b32_e32 v20, v12
	global_load_b32 v7, v[3:4], off
	v_not_b32_e32 v21, v13
	v_not_b32_e32 v22, v14
	v_add_co_u32 v3, vcc_lo, s8, v5
	v_add_co_ci_u32_e32 v4, vcc_lo, s9, v6, vcc_lo
	v_not_b32_e32 v23, v15
	v_not_b32_e32 v24, v16
	;; [unrolled: 1-line block ×3, first 2 shown]
	global_load_b32 v3, v[3:4], off
	v_lshlrev_b32_e32 v4, 3, v8
	v_cmp_gt_u32_e32 vcc_lo, 0x140, v0
	v_lshlrev_b32_e32 v0, 3, v0
	s_movk_i32 s8, 0x64
	s_waitcnt vmcnt(1)
	v_and_b32_e32 v26, 1, v7
	v_lshlrev_b32_e32 v27, 30, v7
	v_lshlrev_b32_e32 v28, 29, v7
	;; [unrolled: 1-line block ×9, first 2 shown]
	v_add_co_u32 v7, s0, v9, -1
	s_delay_alu instid0(VALU_DEP_1)
	v_cndmask_b32_e64 v8, 0, 1, s0
	v_cmp_gt_i32_e64 s0, 0, v10
	s_waitcnt vmcnt(0)
	v_and_b32_e32 v35, 1, v3
	v_lshlrev_b32_e32 v37, 30, v3
	v_lshlrev_b32_e32 v54, 29, v3
	;; [unrolled: 1-line block ×3, first 2 shown]
	v_cndmask_b32_e64 v9, 0, 1, s0
	v_cmp_gt_i32_e64 s0, 0, v11
	v_lshlrev_b32_e32 v38, 27, v3
	v_lshlrev_b32_e32 v39, 26, v3
	v_lshlrev_b32_e32 v40, 25, v3
	v_lshlrev_b32_e32 v41, 24, v3
	v_cndmask_b32_e64 v10, 0, 1, s0
	v_cmp_gt_i32_e64 s0, 0, v12
	v_lshlrev_b32_e32 v42, 23, v3
	v_lshlrev_b32_e32 v6, 3, v3
	v_not_b32_e32 v3, v27
	v_not_b32_e32 v43, v28
	v_cndmask_b32_e64 v11, 0, 1, s0
	v_cmp_gt_i32_e64 s0, 0, v13
	v_not_b32_e32 v44, v29
	v_not_b32_e32 v45, v30
	v_not_b32_e32 v46, v31
	v_not_b32_e32 v47, v32
	v_cndmask_b32_e64 v12, 0, 1, s0
	v_cmp_gt_i32_e64 s0, 0, v14
	v_not_b32_e32 v48, v33
	v_not_b32_e32 v49, v34
	;; [unrolled: 6-line block ×4, first 2 shown]
	v_cmp_gt_i32_e64 s1, 0, v38
	v_cmp_gt_i32_e64 s2, 0, v39
	v_cndmask_b32_e64 v15, 0, 1, s0
	v_cmp_gt_i32_e64 s0, 0, v17
	v_ashrrev_i32_e32 v17, 31, v18
	v_ashrrev_i32_e32 v18, 31, v19
	;; [unrolled: 1-line block ×8, first 2 shown]
	v_add_co_u32 v25, s6, v26, -1
	s_delay_alu instid0(VALU_DEP_1)
	v_cndmask_b32_e64 v26, 0, 1, s6
	v_cmp_gt_i32_e64 s6, 0, v27
	v_cndmask_b32_e64 v16, 0, 1, s0
	v_cmp_gt_i32_e64 s0, 0, v36
	v_cmp_gt_i32_e64 s3, 0, v40
	v_cmp_gt_i32_e64 s4, 0, v41
	v_cndmask_b32_e64 v27, 0, 1, s6
	v_cmp_gt_i32_e64 s6, 0, v28
	v_cmp_gt_i32_e64 s5, 0, v42
	v_ashrrev_i32_e32 v38, 31, v3
	v_ashrrev_i32_e32 v39, 31, v43
	v_ashrrev_i32_e32 v40, 31, v44
	v_cndmask_b32_e64 v28, 0, 1, s6
	v_cmp_gt_i32_e64 s6, 0, v29
	v_ashrrev_i32_e32 v41, 31, v45
	v_ashrrev_i32_e32 v42, 31, v46
	v_ashrrev_i32_e32 v43, 31, v47
	v_ashrrev_i32_e32 v44, 31, v48
	v_cndmask_b32_e64 v29, 0, 1, s6
	v_cmp_gt_i32_e64 s6, 0, v30
	v_ashrrev_i32_e32 v45, 31, v49
	;; [unrolled: 6-line block ×4, first 2 shown]
	s_delay_alu instid0(VALU_DEP_2) | instskip(SKIP_1) | instid1(VALU_DEP_1)
	v_cndmask_b32_e64 v32, 0, 1, s6
	v_cmp_gt_i32_e64 s6, 0, v33
	v_cndmask_b32_e64 v33, 0, 1, s6
	v_cmp_gt_i32_e64 s6, 0, v34
	s_delay_alu instid0(VALU_DEP_1) | instskip(SKIP_1) | instid1(VALU_DEP_1)
	v_cndmask_b32_e64 v34, 0, 1, s6
	v_add_co_u32 v35, s6, v35, -1
	v_cndmask_b32_e64 v36, 0, 1, s6
	v_cmp_gt_i32_e64 s6, 0, v37
	s_delay_alu instid0(VALU_DEP_1) | instskip(SKIP_1) | instid1(VALU_DEP_1)
	v_cndmask_b32_e64 v37, 0, 1, s6
	v_cmp_gt_i32_e64 s6, 0, v54
	v_cndmask_b32_e64 v54, 0, 1, s6
	s_branch .LBB26_2
.LBB26_1:                               ;   in Loop: Header=BB26_2 Depth=1
	s_or_b32 exec_lo, exec_lo, s7
	s_add_i32 s8, s8, -1
	s_waitcnt lgkmcnt(0)
	s_cmp_lg_u32 s8, 0
	s_barrier
	buffer_gl0_inv
	s_cbranch_scc0 .LBB26_10
.LBB26_2:                               ; =>This Inner Loop Header: Depth=1
	s_and_saveexec_b32 s6, vcc_lo
	s_cbranch_execz .LBB26_4
; %bb.3:                                ;   in Loop: Header=BB26_2 Depth=1
	v_mov_b32_e32 v3, v2
	ds_store_b64 v0, v[2:3]
.LBB26_4:                               ;   in Loop: Header=BB26_2 Depth=1
	s_or_b32 exec_lo, exec_lo, s6
	v_cmp_ne_u32_e64 s6, 0, v8
	v_cmp_ne_u32_e64 s7, 0, v9
	s_waitcnt lgkmcnt(0)
	s_barrier
	buffer_gl0_inv
	v_xor_b32_e32 v3, s6, v7
	v_cmp_ne_u32_e64 s6, 0, v10
	v_xor_b32_e32 v55, s7, v17
	v_cmp_ne_u32_e64 s7, 0, v11
	s_delay_alu instid0(VALU_DEP_4) | instskip(NEXT) | instid1(VALU_DEP_4)
	v_and_b32_e32 v3, exec_lo, v3
	v_xor_b32_e32 v56, s6, v18
	v_cmp_ne_u32_e64 s6, 0, v12
	s_delay_alu instid0(VALU_DEP_3) | instskip(SKIP_2) | instid1(VALU_DEP_3)
	v_and_b32_e32 v3, v3, v55
	v_xor_b32_e32 v55, s7, v19
	v_cmp_ne_u32_e64 s7, 0, v13
	v_and_b32_e32 v3, v3, v56
	v_xor_b32_e32 v56, s6, v20
	v_cmp_ne_u32_e64 s6, 0, v14
	s_delay_alu instid0(VALU_DEP_3) | instskip(SKIP_2) | instid1(VALU_DEP_3)
	v_and_b32_e32 v3, v3, v55
	v_xor_b32_e32 v55, s7, v21
	v_cmp_ne_u32_e64 s7, 0, v15
	v_and_b32_e32 v3, v3, v56
	v_xor_b32_e32 v56, s6, v22
	v_cmp_ne_u32_e64 s6, 0, v16
	s_delay_alu instid0(VALU_DEP_3) | instskip(SKIP_2) | instid1(VALU_DEP_2)
	v_and_b32_e32 v3, v3, v55
	v_xor_b32_e32 v55, s7, v23
	s_mov_b32 s7, exec_lo
	v_and_b32_e32 v3, v3, v56
	s_delay_alu instid0(VALU_DEP_1) | instskip(SKIP_1) | instid1(VALU_DEP_1)
	v_and_b32_e32 v3, v3, v55
	v_xor_b32_e32 v55, s6, v24
	v_and_b32_e32 v3, v3, v55
	s_delay_alu instid0(VALU_DEP_1) | instskip(NEXT) | instid1(VALU_DEP_1)
	v_mbcnt_lo_u32_b32 v55, v3, 0
	v_cmpx_eq_u32_e32 0, v55
	s_cbranch_execz .LBB26_6
; %bb.5:                                ;   in Loop: Header=BB26_2 Depth=1
	v_bcnt_u32_b32 v55, v3, 0
	v_mov_b32_e32 v56, v2
	ds_add_u64 v4, v[55:56]
.LBB26_6:                               ;   in Loop: Header=BB26_2 Depth=1
	s_or_b32 exec_lo, exec_lo, s7
	v_cmp_ne_u32_e64 s6, 0, v26
	v_cmp_ne_u32_e64 s7, 0, v27
	s_delay_alu instid0(VALU_DEP_2) | instskip(SKIP_1) | instid1(VALU_DEP_3)
	v_xor_b32_e32 v3, s6, v25
	v_cmp_ne_u32_e64 s6, 0, v28
	v_xor_b32_e32 v55, s7, v38
	v_cmp_ne_u32_e64 s7, 0, v29
	s_delay_alu instid0(VALU_DEP_4) | instskip(NEXT) | instid1(VALU_DEP_4)
	v_and_b32_e32 v3, exec_lo, v3
	v_xor_b32_e32 v56, s6, v39
	v_cmp_ne_u32_e64 s6, 0, v30
	s_delay_alu instid0(VALU_DEP_3) | instskip(SKIP_2) | instid1(VALU_DEP_3)
	v_and_b32_e32 v3, v3, v55
	v_xor_b32_e32 v55, s7, v40
	v_cmp_ne_u32_e64 s7, 0, v31
	v_and_b32_e32 v3, v3, v56
	v_xor_b32_e32 v56, s6, v41
	v_cmp_ne_u32_e64 s6, 0, v32
	s_delay_alu instid0(VALU_DEP_3) | instskip(SKIP_2) | instid1(VALU_DEP_3)
	v_and_b32_e32 v3, v3, v55
	v_xor_b32_e32 v55, s7, v42
	v_cmp_ne_u32_e64 s7, 0, v33
	v_and_b32_e32 v3, v3, v56
	v_xor_b32_e32 v56, s6, v43
	v_cmp_ne_u32_e64 s6, 0, v34
	s_delay_alu instid0(VALU_DEP_3) | instskip(SKIP_2) | instid1(VALU_DEP_2)
	v_and_b32_e32 v3, v3, v55
	v_xor_b32_e32 v55, s7, v44
	s_mov_b32 s7, exec_lo
	v_and_b32_e32 v3, v3, v56
	s_delay_alu instid0(VALU_DEP_1) | instskip(SKIP_1) | instid1(VALU_DEP_1)
	v_and_b32_e32 v3, v3, v55
	v_xor_b32_e32 v55, s6, v45
	v_and_b32_e32 v3, v3, v55
	s_delay_alu instid0(VALU_DEP_1) | instskip(NEXT) | instid1(VALU_DEP_1)
	v_mbcnt_lo_u32_b32 v55, v3, 0
	v_cmpx_eq_u32_e32 0, v55
	s_cbranch_execz .LBB26_8
; %bb.7:                                ;   in Loop: Header=BB26_2 Depth=1
	v_bcnt_u32_b32 v55, v3, 0
	v_mov_b32_e32 v56, v2
	ds_add_u64 v5, v[55:56]
.LBB26_8:                               ;   in Loop: Header=BB26_2 Depth=1
	s_or_b32 exec_lo, exec_lo, s7
	v_cmp_ne_u32_e64 s6, 0, v36
	v_cmp_ne_u32_e64 s7, 0, v37
	v_cndmask_b32_e64 v55, 0, 1, s0
	v_cndmask_b32_e64 v57, 0, 1, s1
	s_delay_alu instid0(VALU_DEP_4) | instskip(SKIP_2) | instid1(VALU_DEP_4)
	v_xor_b32_e32 v3, s6, v35
	v_cmp_ne_u32_e64 s6, 0, v54
	v_xor_b32_e32 v56, s7, v46
	v_cmp_ne_u32_e64 s7, 0, v57
	v_cndmask_b32_e64 v57, 0, 1, s3
	v_and_b32_e32 v3, exec_lo, v3
	v_xor_b32_e32 v58, s6, v47
	v_cmp_ne_u32_e64 s6, 0, v55
	v_cndmask_b32_e64 v55, 0, 1, s2
	s_delay_alu instid0(VALU_DEP_4) | instskip(NEXT) | instid1(VALU_DEP_3)
	v_and_b32_e32 v3, v3, v56
	v_xor_b32_e32 v56, s6, v48
	s_delay_alu instid0(VALU_DEP_3) | instskip(SKIP_1) | instid1(VALU_DEP_4)
	v_cmp_ne_u32_e64 s6, 0, v55
	v_xor_b32_e32 v55, s7, v49
	v_and_b32_e32 v3, v3, v58
	v_cmp_ne_u32_e64 s7, 0, v57
	s_delay_alu instid0(VALU_DEP_4) | instskip(NEXT) | instid1(VALU_DEP_3)
	v_xor_b32_e32 v57, s6, v50
	v_and_b32_e32 v3, v3, v56
	v_cndmask_b32_e64 v56, 0, 1, s4
	s_delay_alu instid0(VALU_DEP_2) | instskip(NEXT) | instid1(VALU_DEP_2)
	v_and_b32_e32 v3, v3, v55
	v_cmp_ne_u32_e64 s6, 0, v56
	v_xor_b32_e32 v55, s7, v51
	v_cndmask_b32_e64 v56, 0, 1, s5
	s_mov_b32 s7, exec_lo
	v_and_b32_e32 v3, v3, v57
	v_xor_b32_e32 v57, s6, v52
	s_delay_alu instid0(VALU_DEP_3) | instskip(NEXT) | instid1(VALU_DEP_3)
	v_cmp_ne_u32_e64 s6, 0, v56
	v_and_b32_e32 v3, v3, v55
	s_delay_alu instid0(VALU_DEP_2) | instskip(NEXT) | instid1(VALU_DEP_2)
	v_xor_b32_e32 v55, s6, v53
	v_and_b32_e32 v3, v3, v57
	s_delay_alu instid0(VALU_DEP_1) | instskip(NEXT) | instid1(VALU_DEP_1)
	v_and_b32_e32 v3, v3, v55
	v_mbcnt_lo_u32_b32 v55, v3, 0
	s_delay_alu instid0(VALU_DEP_1)
	v_cmpx_eq_u32_e32 0, v55
	s_cbranch_execz .LBB26_1
; %bb.9:                                ;   in Loop: Header=BB26_2 Depth=1
	v_bcnt_u32_b32 v55, v3, 0
	v_mov_b32_e32 v56, v2
	ds_add_u64 v6, v[55:56]
	s_branch .LBB26_1
.LBB26_10:
	s_and_saveexec_b32 s0, vcc_lo
	s_cbranch_execz .LBB26_12
; %bb.11:
	ds_load_b64 v[3:4], v0
	v_mov_b32_e32 v2, 0
	s_delay_alu instid0(VALU_DEP_1) | instskip(NEXT) | instid1(VALU_DEP_1)
	v_lshlrev_b64 v[0:1], 3, v[1:2]
	v_add_co_u32 v0, vcc_lo, s10, v0
	s_delay_alu instid0(VALU_DEP_2)
	v_add_co_ci_u32_e32 v1, vcc_lo, s11, v1, vcc_lo
	s_waitcnt lgkmcnt(0)
	global_store_b64 v[0:1], v[3:4], off
.LBB26_12:
	s_nop 0
	s_sendmsg sendmsg(MSG_DEALLOC_VGPRS)
	s_endpgm
	.section	.rodata,"a",@progbits
	.p2align	6, 0x0
	.amdhsa_kernel _Z6kernelI9histogramILN6hipcub23BlockHistogramAlgorithmE0EEyLj320ELj3ELj320ELj100EEvPKT0_PS4_
		.amdhsa_group_segment_fixed_size 2560
		.amdhsa_private_segment_fixed_size 0
		.amdhsa_kernarg_size 16
		.amdhsa_user_sgpr_count 15
		.amdhsa_user_sgpr_dispatch_ptr 0
		.amdhsa_user_sgpr_queue_ptr 0
		.amdhsa_user_sgpr_kernarg_segment_ptr 1
		.amdhsa_user_sgpr_dispatch_id 0
		.amdhsa_user_sgpr_private_segment_size 0
		.amdhsa_wavefront_size32 1
		.amdhsa_uses_dynamic_stack 0
		.amdhsa_enable_private_segment 0
		.amdhsa_system_sgpr_workgroup_id_x 1
		.amdhsa_system_sgpr_workgroup_id_y 0
		.amdhsa_system_sgpr_workgroup_id_z 0
		.amdhsa_system_sgpr_workgroup_info 0
		.amdhsa_system_vgpr_workitem_id 0
		.amdhsa_next_free_vgpr 59
		.amdhsa_next_free_sgpr 16
		.amdhsa_reserve_vcc 1
		.amdhsa_float_round_mode_32 0
		.amdhsa_float_round_mode_16_64 0
		.amdhsa_float_denorm_mode_32 3
		.amdhsa_float_denorm_mode_16_64 3
		.amdhsa_dx10_clamp 1
		.amdhsa_ieee_mode 1
		.amdhsa_fp16_overflow 0
		.amdhsa_workgroup_processor_mode 1
		.amdhsa_memory_ordered 1
		.amdhsa_forward_progress 0
		.amdhsa_shared_vgpr_count 0
		.amdhsa_exception_fp_ieee_invalid_op 0
		.amdhsa_exception_fp_denorm_src 0
		.amdhsa_exception_fp_ieee_div_zero 0
		.amdhsa_exception_fp_ieee_overflow 0
		.amdhsa_exception_fp_ieee_underflow 0
		.amdhsa_exception_fp_ieee_inexact 0
		.amdhsa_exception_int_div_zero 0
	.end_amdhsa_kernel
	.section	.text._Z6kernelI9histogramILN6hipcub23BlockHistogramAlgorithmE0EEyLj320ELj3ELj320ELj100EEvPKT0_PS4_,"axG",@progbits,_Z6kernelI9histogramILN6hipcub23BlockHistogramAlgorithmE0EEyLj320ELj3ELj320ELj100EEvPKT0_PS4_,comdat
.Lfunc_end26:
	.size	_Z6kernelI9histogramILN6hipcub23BlockHistogramAlgorithmE0EEyLj320ELj3ELj320ELj100EEvPKT0_PS4_, .Lfunc_end26-_Z6kernelI9histogramILN6hipcub23BlockHistogramAlgorithmE0EEyLj320ELj3ELj320ELj100EEvPKT0_PS4_
                                        ; -- End function
	.section	.AMDGPU.csdata,"",@progbits
; Kernel info:
; codeLenInByte = 1744
; NumSgprs: 18
; NumVgprs: 59
; ScratchSize: 0
; MemoryBound: 0
; FloatMode: 240
; IeeeMode: 1
; LDSByteSize: 2560 bytes/workgroup (compile time only)
; SGPRBlocks: 2
; VGPRBlocks: 7
; NumSGPRsForWavesPerEU: 18
; NumVGPRsForWavesPerEU: 59
; Occupancy: 15
; WaveLimiterHint : 0
; COMPUTE_PGM_RSRC2:SCRATCH_EN: 0
; COMPUTE_PGM_RSRC2:USER_SGPR: 15
; COMPUTE_PGM_RSRC2:TRAP_HANDLER: 0
; COMPUTE_PGM_RSRC2:TGID_X_EN: 1
; COMPUTE_PGM_RSRC2:TGID_Y_EN: 0
; COMPUTE_PGM_RSRC2:TGID_Z_EN: 0
; COMPUTE_PGM_RSRC2:TIDIG_COMP_CNT: 0
	.section	.text._Z6kernelI9histogramILN6hipcub23BlockHistogramAlgorithmE0EEyLj320ELj4ELj320ELj100EEvPKT0_PS4_,"axG",@progbits,_Z6kernelI9histogramILN6hipcub23BlockHistogramAlgorithmE0EEyLj320ELj4ELj320ELj100EEvPKT0_PS4_,comdat
	.protected	_Z6kernelI9histogramILN6hipcub23BlockHistogramAlgorithmE0EEyLj320ELj4ELj320ELj100EEvPKT0_PS4_ ; -- Begin function _Z6kernelI9histogramILN6hipcub23BlockHistogramAlgorithmE0EEyLj320ELj4ELj320ELj100EEvPKT0_PS4_
	.globl	_Z6kernelI9histogramILN6hipcub23BlockHistogramAlgorithmE0EEyLj320ELj4ELj320ELj100EEvPKT0_PS4_
	.p2align	8
	.type	_Z6kernelI9histogramILN6hipcub23BlockHistogramAlgorithmE0EEyLj320ELj4ELj320ELj100EEvPKT0_PS4_,@function
_Z6kernelI9histogramILN6hipcub23BlockHistogramAlgorithmE0EEyLj320ELj4ELj320ELj100EEvPKT0_PS4_: ; @_Z6kernelI9histogramILN6hipcub23BlockHistogramAlgorithmE0EEyLj320ELj4ELj320ELj100EEvPKT0_PS4_
; %bb.0:
	s_load_b128 s[36:39], s[0:1], 0x0
	v_mad_u64_u32 v[1:2], null, 0x140, s15, v[0:1]
	v_mov_b32_e32 v2, 0
	s_movk_i32 s35, 0x64
	s_delay_alu instid0(VALU_DEP_1) | instskip(NEXT) | instid1(VALU_DEP_1)
	v_dual_mov_b32 v4, v2 :: v_dual_lshlrev_b32 v3, 2, v1
	v_lshlrev_b64 v[3:4], 3, v[3:4]
	s_waitcnt lgkmcnt(0)
	s_delay_alu instid0(VALU_DEP_1) | instskip(NEXT) | instid1(VALU_DEP_2)
	v_add_co_u32 v7, vcc_lo, s36, v3
	v_add_co_ci_u32_e32 v8, vcc_lo, s37, v4, vcc_lo
	v_cmp_gt_u32_e32 vcc_lo, 0x140, v0
	v_lshlrev_b32_e32 v0, 3, v0
	s_clause 0x1
	global_load_b128 v[3:6], v[7:8], off
	global_load_b128 v[6:9], v[7:8], off offset:16
	s_waitcnt vmcnt(1)
	v_and_b32_e32 v11, 1, v3
	v_lshlrev_b32_e32 v13, 30, v3
	v_lshlrev_b32_e32 v12, 25, v3
	;; [unrolled: 1-line block ×4, first 2 shown]
	v_add_co_u32 v11, s29, v11, -1
	s_delay_alu instid0(VALU_DEP_4)
	v_cmp_gt_i32_e64 s2, 0, v12
	v_not_b32_e32 v49, v12
	v_cndmask_b32_e64 v12, 0, 1, s29
	v_cmp_gt_i32_e64 s29, 0, v13
	s_waitcnt vmcnt(0)
	v_lshlrev_b32_e32 v9, 27, v3
	v_lshlrev_b32_e32 v10, 26, v3
	;; [unrolled: 1-line block ×29, first 2 shown]
	v_not_b32_e32 v3, v13
	v_cndmask_b32_e64 v13, 0, 1, s29
	v_cmp_gt_i32_e64 s29, 0, v14
	v_and_b32_e32 v17, 1, v5
	v_and_b32_e32 v26, 1, v6
	;; [unrolled: 1-line block ×3, first 2 shown]
	v_not_b32_e32 v44, v14
	v_not_b32_e32 v45, v47
	;; [unrolled: 1-line block ×30, first 2 shown]
	v_cndmask_b32_e64 v14, 0, 1, s29
	v_cmp_gt_i32_e64 s29, 0, v47
	v_lshlrev_b32_e32 v5, 3, v5
	v_lshlrev_b32_e32 v6, 3, v6
	;; [unrolled: 1-line block ×3, first 2 shown]
	v_cmp_gt_i32_e64 s0, 0, v9
	v_cmp_gt_i32_e64 s1, 0, v10
	v_cmp_gt_i32_e64 s3, 0, v15
	v_cmp_gt_i32_e64 s4, 0, v16
	v_add_co_u32 v8, s31, v17, -1
	v_cmp_gt_i32_e64 s5, 0, v18
	v_cmp_gt_i32_e64 s6, 0, v19
	v_cmp_gt_i32_e64 s7, 0, v20
	v_cmp_gt_i32_e64 s8, 0, v21
	v_cmp_gt_i32_e64 s9, 0, v22
	v_cmp_gt_i32_e64 s10, 0, v23
	v_cmp_gt_i32_e64 s11, 0, v24
	v_cmp_gt_i32_e64 s12, 0, v25
	v_add_co_u32 v9, s33, v26, -1
	v_cmp_gt_i32_e64 s13, 0, v27
	v_cmp_gt_i32_e64 s14, 0, v28
	v_cmp_gt_i32_e64 s15, 0, v29
	v_cmp_gt_i32_e64 s16, 0, v30
	;; [unrolled: 9-line block ×3, first 2 shown]
	v_cmp_gt_i32_e64 s25, 0, v40
	v_cmp_gt_i32_e64 s26, 0, v41
	;; [unrolled: 1-line block ×4, first 2 shown]
	v_ashrrev_i32_e32 v15, 31, v3
	v_ashrrev_i32_e32 v16, 31, v44
	;; [unrolled: 1-line block ×32, first 2 shown]
	v_cndmask_b32_e64 v47, 0, 1, s29
	s_branch .LBB27_2
.LBB27_1:                               ;   in Loop: Header=BB27_2 Depth=1
	s_or_b32 exec_lo, exec_lo, s30
	s_add_i32 s35, s35, -1
	s_waitcnt lgkmcnt(0)
	s_cmp_lg_u32 s35, 0
	s_barrier
	buffer_gl0_inv
	s_cbranch_scc0 .LBB27_12
.LBB27_2:                               ; =>This Inner Loop Header: Depth=1
	s_and_saveexec_b32 s29, vcc_lo
	s_cbranch_execz .LBB27_4
; %bb.3:                                ;   in Loop: Header=BB27_2 Depth=1
	v_mov_b32_e32 v3, v2
	ds_store_b64 v0, v[2:3]
.LBB27_4:                               ;   in Loop: Header=BB27_2 Depth=1
	s_or_b32 exec_lo, exec_lo, s29
	v_cmp_ne_u32_e64 s29, 0, v12
	v_cmp_ne_u32_e64 s30, 0, v13
	v_cndmask_b32_e64 v49, 0, 1, s0
	s_waitcnt lgkmcnt(0)
	s_barrier
	v_xor_b32_e32 v3, s29, v11
	v_cmp_ne_u32_e64 s29, 0, v14
	v_xor_b32_e32 v48, s30, v15
	v_cmp_ne_u32_e64 s30, 0, v47
	buffer_gl0_inv
	v_and_b32_e32 v3, exec_lo, v3
	v_xor_b32_e32 v50, s29, v16
	v_cmp_ne_u32_e64 s29, 0, v49
	v_xor_b32_e32 v51, s30, v17
	v_cndmask_b32_e64 v49, 0, 1, s2
	v_and_b32_e32 v3, v3, v48
	v_cndmask_b32_e64 v48, 0, 1, s1
	s_delay_alu instid0(VALU_DEP_2) | instskip(NEXT) | instid1(VALU_DEP_2)
	v_and_b32_e32 v3, v3, v50
	v_cmp_ne_u32_e64 s30, 0, v48
	v_xor_b32_e32 v48, s29, v18
	v_cndmask_b32_e64 v50, 0, 1, s3
	v_cmp_ne_u32_e64 s29, 0, v49
	v_and_b32_e32 v3, v3, v51
	v_xor_b32_e32 v49, s30, v19
	s_delay_alu instid0(VALU_DEP_4) | instskip(NEXT) | instid1(VALU_DEP_3)
	v_cmp_ne_u32_e64 s30, 0, v50
	v_and_b32_e32 v3, v3, v48
	v_xor_b32_e32 v48, s29, v20
	s_delay_alu instid0(VALU_DEP_3) | instskip(SKIP_1) | instid1(VALU_DEP_3)
	v_xor_b32_e32 v50, s30, v21
	s_mov_b32 s30, exec_lo
	v_and_b32_e32 v3, v3, v49
	v_cndmask_b32_e64 v49, 0, 1, s4
	s_delay_alu instid0(VALU_DEP_2) | instskip(NEXT) | instid1(VALU_DEP_2)
	v_and_b32_e32 v3, v3, v48
	v_cmp_ne_u32_e64 s29, 0, v49
	s_delay_alu instid0(VALU_DEP_2) | instskip(NEXT) | instid1(VALU_DEP_2)
	v_and_b32_e32 v3, v3, v50
	v_xor_b32_e32 v48, s29, v22
	s_delay_alu instid0(VALU_DEP_1) | instskip(NEXT) | instid1(VALU_DEP_1)
	v_and_b32_e32 v3, v3, v48
	v_mbcnt_lo_u32_b32 v48, v3, 0
	s_delay_alu instid0(VALU_DEP_1)
	v_cmpx_eq_u32_e32 0, v48
	s_cbranch_execz .LBB27_6
; %bb.5:                                ;   in Loop: Header=BB27_2 Depth=1
	v_bcnt_u32_b32 v48, v3, 0
	v_mov_b32_e32 v49, v2
	ds_add_u64 v4, v[48:49]
.LBB27_6:                               ;   in Loop: Header=BB27_2 Depth=1
	s_or_b32 exec_lo, exec_lo, s30
	v_cndmask_b32_e64 v3, 0, 1, s31
	v_cndmask_b32_e64 v48, 0, 1, s5
	;; [unrolled: 1-line block ×4, first 2 shown]
	s_delay_alu instid0(VALU_DEP_4) | instskip(SKIP_2) | instid1(VALU_DEP_3)
	v_cmp_ne_u32_e64 s29, 0, v3
	v_cndmask_b32_e64 v3, 0, 1, s6
	v_cmp_ne_u32_e64 s30, 0, v48
	v_xor_b32_e32 v48, s29, v8
	s_delay_alu instid0(VALU_DEP_3) | instskip(NEXT) | instid1(VALU_DEP_3)
	v_cmp_ne_u32_e64 s29, 0, v3
	v_xor_b32_e32 v3, s30, v23
	v_cmp_ne_u32_e64 s30, 0, v49
	s_delay_alu instid0(VALU_DEP_4) | instskip(NEXT) | instid1(VALU_DEP_4)
	v_and_b32_e32 v48, exec_lo, v48
	v_xor_b32_e32 v49, s29, v24
	v_cmp_ne_u32_e64 s29, 0, v50
	s_delay_alu instid0(VALU_DEP_4) | instskip(NEXT) | instid1(VALU_DEP_4)
	v_xor_b32_e32 v50, s30, v25
	v_and_b32_e32 v3, v48, v3
	v_cndmask_b32_e64 v48, 0, 1, s9
	s_delay_alu instid0(VALU_DEP_2) | instskip(SKIP_1) | instid1(VALU_DEP_3)
	v_and_b32_e32 v3, v3, v49
	v_cndmask_b32_e64 v49, 0, 1, s10
	v_cmp_ne_u32_e64 s30, 0, v48
	v_xor_b32_e32 v48, s29, v26
	s_delay_alu instid0(VALU_DEP_4) | instskip(SKIP_3) | instid1(VALU_DEP_4)
	v_and_b32_e32 v3, v3, v50
	v_cndmask_b32_e64 v50, 0, 1, s11
	v_cmp_ne_u32_e64 s29, 0, v49
	v_xor_b32_e32 v49, s30, v27
	v_and_b32_e32 v3, v3, v48
	s_delay_alu instid0(VALU_DEP_4) | instskip(NEXT) | instid1(VALU_DEP_4)
	v_cmp_ne_u32_e64 s30, 0, v50
	v_xor_b32_e32 v48, s29, v28
	s_delay_alu instid0(VALU_DEP_3) | instskip(SKIP_1) | instid1(VALU_DEP_4)
	v_and_b32_e32 v3, v3, v49
	v_cndmask_b32_e64 v49, 0, 1, s12
	v_xor_b32_e32 v50, s30, v29
	s_mov_b32 s30, exec_lo
	s_delay_alu instid0(VALU_DEP_3) | instskip(NEXT) | instid1(VALU_DEP_3)
	v_and_b32_e32 v3, v3, v48
	v_cmp_ne_u32_e64 s29, 0, v49
	s_delay_alu instid0(VALU_DEP_2) | instskip(NEXT) | instid1(VALU_DEP_2)
	v_and_b32_e32 v3, v3, v50
	v_xor_b32_e32 v48, s29, v30
	s_delay_alu instid0(VALU_DEP_1) | instskip(NEXT) | instid1(VALU_DEP_1)
	v_and_b32_e32 v3, v3, v48
	v_mbcnt_lo_u32_b32 v48, v3, 0
	s_delay_alu instid0(VALU_DEP_1)
	v_cmpx_eq_u32_e32 0, v48
	s_cbranch_execz .LBB27_8
; %bb.7:                                ;   in Loop: Header=BB27_2 Depth=1
	v_bcnt_u32_b32 v48, v3, 0
	v_mov_b32_e32 v49, v2
	ds_add_u64 v5, v[48:49]
.LBB27_8:                               ;   in Loop: Header=BB27_2 Depth=1
	s_or_b32 exec_lo, exec_lo, s30
	v_cndmask_b32_e64 v3, 0, 1, s33
	v_cndmask_b32_e64 v48, 0, 1, s13
	;; [unrolled: 1-line block ×4, first 2 shown]
	s_delay_alu instid0(VALU_DEP_4) | instskip(SKIP_2) | instid1(VALU_DEP_3)
	v_cmp_ne_u32_e64 s29, 0, v3
	v_cndmask_b32_e64 v3, 0, 1, s14
	v_cmp_ne_u32_e64 s30, 0, v48
	v_xor_b32_e32 v48, s29, v9
	s_delay_alu instid0(VALU_DEP_3) | instskip(NEXT) | instid1(VALU_DEP_3)
	v_cmp_ne_u32_e64 s29, 0, v3
	v_xor_b32_e32 v3, s30, v31
	v_cmp_ne_u32_e64 s30, 0, v49
	s_delay_alu instid0(VALU_DEP_4) | instskip(NEXT) | instid1(VALU_DEP_4)
	v_and_b32_e32 v48, exec_lo, v48
	v_xor_b32_e32 v49, s29, v32
	v_cmp_ne_u32_e64 s29, 0, v50
	s_delay_alu instid0(VALU_DEP_4) | instskip(NEXT) | instid1(VALU_DEP_4)
	v_xor_b32_e32 v50, s30, v33
	v_and_b32_e32 v3, v48, v3
	v_cndmask_b32_e64 v48, 0, 1, s17
	s_delay_alu instid0(VALU_DEP_2) | instskip(SKIP_1) | instid1(VALU_DEP_3)
	v_and_b32_e32 v3, v3, v49
	v_cndmask_b32_e64 v49, 0, 1, s18
	v_cmp_ne_u32_e64 s30, 0, v48
	v_xor_b32_e32 v48, s29, v34
	s_delay_alu instid0(VALU_DEP_4) | instskip(SKIP_3) | instid1(VALU_DEP_4)
	v_and_b32_e32 v3, v3, v50
	v_cndmask_b32_e64 v50, 0, 1, s19
	v_cmp_ne_u32_e64 s29, 0, v49
	v_xor_b32_e32 v49, s30, v35
	v_and_b32_e32 v3, v3, v48
	s_delay_alu instid0(VALU_DEP_4) | instskip(NEXT) | instid1(VALU_DEP_4)
	v_cmp_ne_u32_e64 s30, 0, v50
	v_xor_b32_e32 v48, s29, v36
	s_delay_alu instid0(VALU_DEP_3) | instskip(SKIP_1) | instid1(VALU_DEP_4)
	v_and_b32_e32 v3, v3, v49
	v_cndmask_b32_e64 v49, 0, 1, s20
	v_xor_b32_e32 v50, s30, v37
	s_mov_b32 s30, exec_lo
	s_delay_alu instid0(VALU_DEP_3) | instskip(NEXT) | instid1(VALU_DEP_3)
	v_and_b32_e32 v3, v3, v48
	v_cmp_ne_u32_e64 s29, 0, v49
	s_delay_alu instid0(VALU_DEP_2) | instskip(NEXT) | instid1(VALU_DEP_2)
	v_and_b32_e32 v3, v3, v50
	v_xor_b32_e32 v48, s29, v38
	s_delay_alu instid0(VALU_DEP_1) | instskip(NEXT) | instid1(VALU_DEP_1)
	v_and_b32_e32 v3, v3, v48
	v_mbcnt_lo_u32_b32 v48, v3, 0
	s_delay_alu instid0(VALU_DEP_1)
	v_cmpx_eq_u32_e32 0, v48
	s_cbranch_execz .LBB27_10
; %bb.9:                                ;   in Loop: Header=BB27_2 Depth=1
	v_bcnt_u32_b32 v48, v3, 0
	v_mov_b32_e32 v49, v2
	ds_add_u64 v6, v[48:49]
.LBB27_10:                              ;   in Loop: Header=BB27_2 Depth=1
	s_or_b32 exec_lo, exec_lo, s30
	v_cndmask_b32_e64 v3, 0, 1, s34
	v_cndmask_b32_e64 v48, 0, 1, s21
	;; [unrolled: 1-line block ×4, first 2 shown]
	s_delay_alu instid0(VALU_DEP_4) | instskip(SKIP_2) | instid1(VALU_DEP_3)
	v_cmp_ne_u32_e64 s29, 0, v3
	v_cndmask_b32_e64 v3, 0, 1, s22
	v_cmp_ne_u32_e64 s30, 0, v48
	v_xor_b32_e32 v48, s29, v10
	s_delay_alu instid0(VALU_DEP_3) | instskip(NEXT) | instid1(VALU_DEP_3)
	v_cmp_ne_u32_e64 s29, 0, v3
	v_xor_b32_e32 v3, s30, v39
	v_cmp_ne_u32_e64 s30, 0, v49
	s_delay_alu instid0(VALU_DEP_4) | instskip(NEXT) | instid1(VALU_DEP_4)
	v_and_b32_e32 v48, exec_lo, v48
	v_xor_b32_e32 v49, s29, v40
	v_cmp_ne_u32_e64 s29, 0, v50
	s_delay_alu instid0(VALU_DEP_4) | instskip(NEXT) | instid1(VALU_DEP_4)
	v_xor_b32_e32 v50, s30, v41
	v_and_b32_e32 v3, v48, v3
	v_cndmask_b32_e64 v48, 0, 1, s25
	s_delay_alu instid0(VALU_DEP_2) | instskip(SKIP_1) | instid1(VALU_DEP_3)
	v_and_b32_e32 v3, v3, v49
	v_cndmask_b32_e64 v49, 0, 1, s26
	v_cmp_ne_u32_e64 s30, 0, v48
	v_xor_b32_e32 v48, s29, v42
	s_delay_alu instid0(VALU_DEP_4) | instskip(SKIP_3) | instid1(VALU_DEP_4)
	v_and_b32_e32 v3, v3, v50
	v_cndmask_b32_e64 v50, 0, 1, s27
	v_cmp_ne_u32_e64 s29, 0, v49
	v_xor_b32_e32 v49, s30, v43
	v_and_b32_e32 v3, v3, v48
	s_delay_alu instid0(VALU_DEP_4) | instskip(NEXT) | instid1(VALU_DEP_4)
	v_cmp_ne_u32_e64 s30, 0, v50
	v_xor_b32_e32 v48, s29, v44
	s_delay_alu instid0(VALU_DEP_3) | instskip(SKIP_1) | instid1(VALU_DEP_4)
	v_and_b32_e32 v3, v3, v49
	v_cndmask_b32_e64 v49, 0, 1, s28
	v_xor_b32_e32 v50, s30, v45
	s_mov_b32 s30, exec_lo
	s_delay_alu instid0(VALU_DEP_3) | instskip(NEXT) | instid1(VALU_DEP_3)
	v_and_b32_e32 v3, v3, v48
	v_cmp_ne_u32_e64 s29, 0, v49
	s_delay_alu instid0(VALU_DEP_2) | instskip(NEXT) | instid1(VALU_DEP_2)
	v_and_b32_e32 v3, v3, v50
	v_xor_b32_e32 v48, s29, v46
	s_delay_alu instid0(VALU_DEP_1) | instskip(NEXT) | instid1(VALU_DEP_1)
	v_and_b32_e32 v3, v3, v48
	v_mbcnt_lo_u32_b32 v48, v3, 0
	s_delay_alu instid0(VALU_DEP_1)
	v_cmpx_eq_u32_e32 0, v48
	s_cbranch_execz .LBB27_1
; %bb.11:                               ;   in Loop: Header=BB27_2 Depth=1
	v_bcnt_u32_b32 v48, v3, 0
	v_mov_b32_e32 v49, v2
	ds_add_u64 v7, v[48:49]
	s_branch .LBB27_1
.LBB27_12:
	s_and_saveexec_b32 s0, vcc_lo
	s_cbranch_execz .LBB27_14
; %bb.13:
	ds_load_b64 v[3:4], v0
	v_mov_b32_e32 v2, 0
	s_delay_alu instid0(VALU_DEP_1) | instskip(NEXT) | instid1(VALU_DEP_1)
	v_lshlrev_b64 v[0:1], 3, v[1:2]
	v_add_co_u32 v0, vcc_lo, s38, v0
	s_delay_alu instid0(VALU_DEP_2)
	v_add_co_ci_u32_e32 v1, vcc_lo, s39, v1, vcc_lo
	s_waitcnt lgkmcnt(0)
	global_store_b64 v[0:1], v[3:4], off
.LBB27_14:
	s_nop 0
	s_sendmsg sendmsg(MSG_DEALLOC_VGPRS)
	s_endpgm
	.section	.rodata,"a",@progbits
	.p2align	6, 0x0
	.amdhsa_kernel _Z6kernelI9histogramILN6hipcub23BlockHistogramAlgorithmE0EEyLj320ELj4ELj320ELj100EEvPKT0_PS4_
		.amdhsa_group_segment_fixed_size 2560
		.amdhsa_private_segment_fixed_size 0
		.amdhsa_kernarg_size 16
		.amdhsa_user_sgpr_count 15
		.amdhsa_user_sgpr_dispatch_ptr 0
		.amdhsa_user_sgpr_queue_ptr 0
		.amdhsa_user_sgpr_kernarg_segment_ptr 1
		.amdhsa_user_sgpr_dispatch_id 0
		.amdhsa_user_sgpr_private_segment_size 0
		.amdhsa_wavefront_size32 1
		.amdhsa_uses_dynamic_stack 0
		.amdhsa_enable_private_segment 0
		.amdhsa_system_sgpr_workgroup_id_x 1
		.amdhsa_system_sgpr_workgroup_id_y 0
		.amdhsa_system_sgpr_workgroup_id_z 0
		.amdhsa_system_sgpr_workgroup_info 0
		.amdhsa_system_vgpr_workitem_id 0
		.amdhsa_next_free_vgpr 76
		.amdhsa_next_free_sgpr 40
		.amdhsa_reserve_vcc 1
		.amdhsa_float_round_mode_32 0
		.amdhsa_float_round_mode_16_64 0
		.amdhsa_float_denorm_mode_32 3
		.amdhsa_float_denorm_mode_16_64 3
		.amdhsa_dx10_clamp 1
		.amdhsa_ieee_mode 1
		.amdhsa_fp16_overflow 0
		.amdhsa_workgroup_processor_mode 1
		.amdhsa_memory_ordered 1
		.amdhsa_forward_progress 0
		.amdhsa_shared_vgpr_count 0
		.amdhsa_exception_fp_ieee_invalid_op 0
		.amdhsa_exception_fp_denorm_src 0
		.amdhsa_exception_fp_ieee_div_zero 0
		.amdhsa_exception_fp_ieee_overflow 0
		.amdhsa_exception_fp_ieee_underflow 0
		.amdhsa_exception_fp_ieee_inexact 0
		.amdhsa_exception_int_div_zero 0
	.end_amdhsa_kernel
	.section	.text._Z6kernelI9histogramILN6hipcub23BlockHistogramAlgorithmE0EEyLj320ELj4ELj320ELj100EEvPKT0_PS4_,"axG",@progbits,_Z6kernelI9histogramILN6hipcub23BlockHistogramAlgorithmE0EEyLj320ELj4ELj320ELj100EEvPKT0_PS4_,comdat
.Lfunc_end27:
	.size	_Z6kernelI9histogramILN6hipcub23BlockHistogramAlgorithmE0EEyLj320ELj4ELj320ELj100EEvPKT0_PS4_, .Lfunc_end27-_Z6kernelI9histogramILN6hipcub23BlockHistogramAlgorithmE0EEyLj320ELj4ELj320ELj100EEvPKT0_PS4_
                                        ; -- End function
	.section	.AMDGPU.csdata,"",@progbits
; Kernel info:
; codeLenInByte = 2176
; NumSgprs: 42
; NumVgprs: 76
; ScratchSize: 0
; MemoryBound: 0
; FloatMode: 240
; IeeeMode: 1
; LDSByteSize: 2560 bytes/workgroup (compile time only)
; SGPRBlocks: 5
; VGPRBlocks: 9
; NumSGPRsForWavesPerEU: 42
; NumVGPRsForWavesPerEU: 76
; Occupancy: 15
; WaveLimiterHint : 0
; COMPUTE_PGM_RSRC2:SCRATCH_EN: 0
; COMPUTE_PGM_RSRC2:USER_SGPR: 15
; COMPUTE_PGM_RSRC2:TRAP_HANDLER: 0
; COMPUTE_PGM_RSRC2:TGID_X_EN: 1
; COMPUTE_PGM_RSRC2:TGID_Y_EN: 0
; COMPUTE_PGM_RSRC2:TGID_Z_EN: 0
; COMPUTE_PGM_RSRC2:TIDIG_COMP_CNT: 0
	.section	.text._Z6kernelI9histogramILN6hipcub23BlockHistogramAlgorithmE0EEyLj320ELj8ELj320ELj100EEvPKT0_PS4_,"axG",@progbits,_Z6kernelI9histogramILN6hipcub23BlockHistogramAlgorithmE0EEyLj320ELj8ELj320ELj100EEvPKT0_PS4_,comdat
	.protected	_Z6kernelI9histogramILN6hipcub23BlockHistogramAlgorithmE0EEyLj320ELj8ELj320ELj100EEvPKT0_PS4_ ; -- Begin function _Z6kernelI9histogramILN6hipcub23BlockHistogramAlgorithmE0EEyLj320ELj8ELj320ELj100EEvPKT0_PS4_
	.globl	_Z6kernelI9histogramILN6hipcub23BlockHistogramAlgorithmE0EEyLj320ELj8ELj320ELj100EEvPKT0_PS4_
	.p2align	8
	.type	_Z6kernelI9histogramILN6hipcub23BlockHistogramAlgorithmE0EEyLj320ELj8ELj320ELj100EEvPKT0_PS4_,@function
_Z6kernelI9histogramILN6hipcub23BlockHistogramAlgorithmE0EEyLj320ELj8ELj320ELj100EEvPKT0_PS4_: ; @_Z6kernelI9histogramILN6hipcub23BlockHistogramAlgorithmE0EEyLj320ELj8ELj320ELj100EEvPKT0_PS4_
; %bb.0:
	s_load_b128 s[68:71], s[0:1], 0x0
	v_mad_u64_u32 v[1:2], null, 0x140, s15, v[0:1]
	v_mov_b32_e32 v2, 0
	s_movk_i32 s77, 0x64
	s_delay_alu instid0(VALU_DEP_1) | instskip(NEXT) | instid1(VALU_DEP_1)
	v_dual_mov_b32 v4, v2 :: v_dual_lshlrev_b32 v3, 3, v1
	v_lshlrev_b64 v[3:4], 3, v[3:4]
	s_waitcnt lgkmcnt(0)
	s_delay_alu instid0(VALU_DEP_1) | instskip(NEXT) | instid1(VALU_DEP_2)
	v_add_co_u32 v13, vcc_lo, s68, v3
	v_add_co_ci_u32_e32 v14, vcc_lo, s69, v4, vcc_lo
	v_cmp_gt_u32_e32 vcc_lo, 0x140, v0
	v_lshlrev_b32_e32 v0, 3, v0
	s_clause 0x3
	global_load_b128 v[3:6], v[13:14], off
	global_load_b128 v[6:9], v[13:14], off offset:16
	global_load_b128 v[9:12], v[13:14], off offset:32
	global_load_b128 v[81:84], v[13:14], off offset:48
	s_waitcnt vmcnt(3)
	v_lshlrev_b32_e32 v13, 30, v3
	s_waitcnt vmcnt(1)
	v_and_b32_e32 v12, 1, v3
	v_lshlrev_b32_e32 v14, 29, v3
	v_lshlrev_b32_e32 v15, 28, v3
	;; [unrolled: 1-line block ×8, first 2 shown]
	v_and_b32_e32 v3, 1, v5
	v_lshlrev_b32_e32 v21, 30, v5
	v_lshlrev_b32_e32 v22, 29, v5
	;; [unrolled: 1-line block ×40, first 2 shown]
	s_waitcnt vmcnt(0)
	v_and_b32_e32 v65, 1, v81
	v_lshlrev_b32_e32 v66, 30, v81
	v_lshlrev_b32_e32 v67, 29, v81
	;; [unrolled: 1-line block ×17, first 2 shown]
	v_and_b32_e32 v29, 1, v6
	v_and_b32_e32 v38, 1, v8
	v_lshlrev_b32_e32 v7, 3, v8
	v_and_b32_e32 v47, 1, v9
	v_lshlrev_b32_e32 v8, 3, v9
	;; [unrolled: 2-line block ×3, first 2 shown]
	v_and_b32_e32 v74, 1, v83
	v_add_co_u32 v11, s67, v12, -1
	v_not_b32_e32 v84, v13
	v_not_b32_e32 v85, v14
	;; [unrolled: 1-line block ×8, first 2 shown]
	v_add_co_u32 v12, s68, v3, -1
	v_not_b32_e32 v3, v21
	v_not_b32_e32 v92, v22
	;; [unrolled: 1-line block ×48, first 2 shown]
	v_cmp_gt_i32_e64 s57, 0, v75
	v_not_b32_e32 v75, v75
	v_cmp_gt_i32_e64 s58, 0, v76
	v_not_b32_e32 v76, v76
	;; [unrolled: 2-line block ×8, first 2 shown]
	v_lshlrev_b32_e32 v5, 3, v5
	v_lshlrev_b32_e32 v6, 3, v6
	v_cmp_gt_i32_e64 s0, 0, v13
	v_cmp_gt_i32_e64 s1, 0, v14
	;; [unrolled: 1-line block ×16, first 2 shown]
	v_add_co_u32 v13, s69, v29, -1
	v_cmp_gt_i32_e64 s16, 0, v30
	v_cmp_gt_i32_e64 s17, 0, v31
	v_cmp_gt_i32_e64 s18, 0, v32
	v_cmp_gt_i32_e64 s19, 0, v33
	v_cmp_gt_i32_e64 s20, 0, v34
	v_cmp_gt_i32_e64 s21, 0, v35
	v_cmp_gt_i32_e64 s22, 0, v36
	v_cmp_gt_i32_e64 s23, 0, v37
	v_add_co_u32 v14, s72, v38, -1
	v_cmp_gt_i32_e64 s24, 0, v39
	v_cmp_gt_i32_e64 s25, 0, v40
	v_cmp_gt_i32_e64 s26, 0, v41
	v_cmp_gt_i32_e64 s27, 0, v42
	v_cmp_gt_i32_e64 s28, 0, v43
	v_cmp_gt_i32_e64 s29, 0, v44
	v_cmp_gt_i32_e64 s30, 0, v45
	v_cmp_gt_i32_e64 s31, 0, v46
	;; [unrolled: 9-line block ×5, first 2 shown]
	v_add_co_u32 v18, s76, v74, -1
	v_ashrrev_i32_e32 v19, 31, v84
	v_ashrrev_i32_e32 v20, 31, v85
	;; [unrolled: 1-line block ×64, first 2 shown]
	v_lshlrev_b32_e32 v83, 3, v83
	s_branch .LBB28_2
.LBB28_1:                               ;   in Loop: Header=BB28_2 Depth=1
	s_or_b32 exec_lo, exec_lo, s66
	s_add_i32 s77, s77, -1
	s_waitcnt lgkmcnt(0)
	s_cmp_lg_u32 s77, 0
	s_barrier
	buffer_gl0_inv
	s_cbranch_scc0 .LBB28_20
.LBB28_2:                               ; =>This Inner Loop Header: Depth=1
	s_and_saveexec_b32 s65, vcc_lo
	s_cbranch_execz .LBB28_4
; %bb.3:                                ;   in Loop: Header=BB28_2 Depth=1
	v_mov_b32_e32 v3, v2
	ds_store_b64 v0, v[2:3]
.LBB28_4:                               ;   in Loop: Header=BB28_2 Depth=1
	s_or_b32 exec_lo, exec_lo, s65
	v_cndmask_b32_e64 v3, 0, 1, s67
	v_cndmask_b32_e64 v84, 0, 1, s0
	;; [unrolled: 1-line block ×4, first 2 shown]
	s_waitcnt lgkmcnt(0)
	v_cmp_ne_u32_e64 s65, 0, v3
	v_cndmask_b32_e64 v3, 0, 1, s1
	v_cmp_ne_u32_e64 s66, 0, v84
	s_barrier
	buffer_gl0_inv
	v_xor_b32_e32 v84, s65, v11
	v_cmp_ne_u32_e64 s65, 0, v3
	v_xor_b32_e32 v3, s66, v19
	v_cmp_ne_u32_e64 s66, 0, v85
	s_delay_alu instid0(VALU_DEP_4) | instskip(NEXT) | instid1(VALU_DEP_4)
	v_and_b32_e32 v84, exec_lo, v84
	v_xor_b32_e32 v85, s65, v20
	v_cmp_ne_u32_e64 s65, 0, v86
	s_delay_alu instid0(VALU_DEP_4) | instskip(NEXT) | instid1(VALU_DEP_4)
	v_xor_b32_e32 v86, s66, v21
	v_and_b32_e32 v3, v84, v3
	v_cndmask_b32_e64 v84, 0, 1, s4
	s_delay_alu instid0(VALU_DEP_2) | instskip(SKIP_1) | instid1(VALU_DEP_3)
	v_and_b32_e32 v3, v3, v85
	v_cndmask_b32_e64 v85, 0, 1, s5
	v_cmp_ne_u32_e64 s66, 0, v84
	v_xor_b32_e32 v84, s65, v22
	s_delay_alu instid0(VALU_DEP_4) | instskip(SKIP_3) | instid1(VALU_DEP_4)
	v_and_b32_e32 v3, v3, v86
	v_cndmask_b32_e64 v86, 0, 1, s6
	v_cmp_ne_u32_e64 s65, 0, v85
	v_xor_b32_e32 v85, s66, v23
	v_and_b32_e32 v3, v3, v84
	s_delay_alu instid0(VALU_DEP_4) | instskip(NEXT) | instid1(VALU_DEP_4)
	v_cmp_ne_u32_e64 s66, 0, v86
	v_xor_b32_e32 v84, s65, v24
	s_delay_alu instid0(VALU_DEP_3) | instskip(SKIP_1) | instid1(VALU_DEP_4)
	v_and_b32_e32 v3, v3, v85
	v_cndmask_b32_e64 v85, 0, 1, s7
	v_xor_b32_e32 v86, s66, v25
	s_mov_b32 s66, exec_lo
	s_delay_alu instid0(VALU_DEP_3) | instskip(NEXT) | instid1(VALU_DEP_3)
	v_and_b32_e32 v3, v3, v84
	v_cmp_ne_u32_e64 s65, 0, v85
	s_delay_alu instid0(VALU_DEP_2) | instskip(NEXT) | instid1(VALU_DEP_2)
	v_and_b32_e32 v3, v3, v86
	v_xor_b32_e32 v84, s65, v26
	s_delay_alu instid0(VALU_DEP_1) | instskip(NEXT) | instid1(VALU_DEP_1)
	v_and_b32_e32 v3, v3, v84
	v_mbcnt_lo_u32_b32 v84, v3, 0
	s_delay_alu instid0(VALU_DEP_1)
	v_cmpx_eq_u32_e32 0, v84
	s_cbranch_execz .LBB28_6
; %bb.5:                                ;   in Loop: Header=BB28_2 Depth=1
	v_bcnt_u32_b32 v84, v3, 0
	v_mov_b32_e32 v85, v2
	ds_add_u64 v4, v[84:85]
.LBB28_6:                               ;   in Loop: Header=BB28_2 Depth=1
	s_or_b32 exec_lo, exec_lo, s66
	v_cndmask_b32_e64 v3, 0, 1, s68
	v_cndmask_b32_e64 v84, 0, 1, s8
	;; [unrolled: 1-line block ×4, first 2 shown]
	s_delay_alu instid0(VALU_DEP_4) | instskip(SKIP_2) | instid1(VALU_DEP_3)
	v_cmp_ne_u32_e64 s65, 0, v3
	v_cndmask_b32_e64 v3, 0, 1, s9
	v_cmp_ne_u32_e64 s66, 0, v84
	v_xor_b32_e32 v84, s65, v12
	s_delay_alu instid0(VALU_DEP_3) | instskip(NEXT) | instid1(VALU_DEP_3)
	v_cmp_ne_u32_e64 s65, 0, v3
	v_xor_b32_e32 v3, s66, v27
	v_cmp_ne_u32_e64 s66, 0, v85
	s_delay_alu instid0(VALU_DEP_4) | instskip(NEXT) | instid1(VALU_DEP_4)
	v_and_b32_e32 v84, exec_lo, v84
	v_xor_b32_e32 v85, s65, v28
	v_cmp_ne_u32_e64 s65, 0, v86
	s_delay_alu instid0(VALU_DEP_4) | instskip(NEXT) | instid1(VALU_DEP_4)
	v_xor_b32_e32 v86, s66, v29
	v_and_b32_e32 v3, v84, v3
	v_cndmask_b32_e64 v84, 0, 1, s12
	s_delay_alu instid0(VALU_DEP_2) | instskip(SKIP_1) | instid1(VALU_DEP_3)
	v_and_b32_e32 v3, v3, v85
	v_cndmask_b32_e64 v85, 0, 1, s13
	v_cmp_ne_u32_e64 s66, 0, v84
	v_xor_b32_e32 v84, s65, v30
	s_delay_alu instid0(VALU_DEP_4) | instskip(SKIP_3) | instid1(VALU_DEP_4)
	v_and_b32_e32 v3, v3, v86
	v_cndmask_b32_e64 v86, 0, 1, s14
	v_cmp_ne_u32_e64 s65, 0, v85
	v_xor_b32_e32 v85, s66, v31
	v_and_b32_e32 v3, v3, v84
	s_delay_alu instid0(VALU_DEP_4) | instskip(NEXT) | instid1(VALU_DEP_4)
	v_cmp_ne_u32_e64 s66, 0, v86
	v_xor_b32_e32 v84, s65, v32
	s_delay_alu instid0(VALU_DEP_3) | instskip(SKIP_1) | instid1(VALU_DEP_4)
	v_and_b32_e32 v3, v3, v85
	v_cndmask_b32_e64 v85, 0, 1, s15
	v_xor_b32_e32 v86, s66, v33
	s_mov_b32 s66, exec_lo
	s_delay_alu instid0(VALU_DEP_3) | instskip(NEXT) | instid1(VALU_DEP_3)
	v_and_b32_e32 v3, v3, v84
	v_cmp_ne_u32_e64 s65, 0, v85
	s_delay_alu instid0(VALU_DEP_2) | instskip(NEXT) | instid1(VALU_DEP_2)
	v_and_b32_e32 v3, v3, v86
	v_xor_b32_e32 v84, s65, v34
	s_delay_alu instid0(VALU_DEP_1) | instskip(NEXT) | instid1(VALU_DEP_1)
	v_and_b32_e32 v3, v3, v84
	v_mbcnt_lo_u32_b32 v84, v3, 0
	s_delay_alu instid0(VALU_DEP_1)
	v_cmpx_eq_u32_e32 0, v84
	s_cbranch_execz .LBB28_8
; %bb.7:                                ;   in Loop: Header=BB28_2 Depth=1
	v_bcnt_u32_b32 v84, v3, 0
	v_mov_b32_e32 v85, v2
	ds_add_u64 v5, v[84:85]
.LBB28_8:                               ;   in Loop: Header=BB28_2 Depth=1
	s_or_b32 exec_lo, exec_lo, s66
	v_cndmask_b32_e64 v3, 0, 1, s69
	v_cndmask_b32_e64 v84, 0, 1, s16
	;; [unrolled: 1-line block ×4, first 2 shown]
	s_delay_alu instid0(VALU_DEP_4) | instskip(SKIP_2) | instid1(VALU_DEP_3)
	v_cmp_ne_u32_e64 s65, 0, v3
	v_cndmask_b32_e64 v3, 0, 1, s17
	v_cmp_ne_u32_e64 s66, 0, v84
	v_xor_b32_e32 v84, s65, v13
	s_delay_alu instid0(VALU_DEP_3) | instskip(NEXT) | instid1(VALU_DEP_3)
	v_cmp_ne_u32_e64 s65, 0, v3
	v_xor_b32_e32 v3, s66, v35
	v_cmp_ne_u32_e64 s66, 0, v85
	s_delay_alu instid0(VALU_DEP_4) | instskip(NEXT) | instid1(VALU_DEP_4)
	v_and_b32_e32 v84, exec_lo, v84
	v_xor_b32_e32 v85, s65, v36
	v_cmp_ne_u32_e64 s65, 0, v86
	s_delay_alu instid0(VALU_DEP_4) | instskip(NEXT) | instid1(VALU_DEP_4)
	v_xor_b32_e32 v86, s66, v37
	v_and_b32_e32 v3, v84, v3
	v_cndmask_b32_e64 v84, 0, 1, s20
	s_delay_alu instid0(VALU_DEP_2) | instskip(SKIP_1) | instid1(VALU_DEP_3)
	v_and_b32_e32 v3, v3, v85
	v_cndmask_b32_e64 v85, 0, 1, s21
	v_cmp_ne_u32_e64 s66, 0, v84
	v_xor_b32_e32 v84, s65, v38
	s_delay_alu instid0(VALU_DEP_4) | instskip(SKIP_3) | instid1(VALU_DEP_4)
	v_and_b32_e32 v3, v3, v86
	v_cndmask_b32_e64 v86, 0, 1, s22
	v_cmp_ne_u32_e64 s65, 0, v85
	v_xor_b32_e32 v85, s66, v39
	v_and_b32_e32 v3, v3, v84
	s_delay_alu instid0(VALU_DEP_4) | instskip(NEXT) | instid1(VALU_DEP_4)
	v_cmp_ne_u32_e64 s66, 0, v86
	v_xor_b32_e32 v84, s65, v40
	s_delay_alu instid0(VALU_DEP_3) | instskip(SKIP_1) | instid1(VALU_DEP_4)
	v_and_b32_e32 v3, v3, v85
	v_cndmask_b32_e64 v85, 0, 1, s23
	v_xor_b32_e32 v86, s66, v41
	s_mov_b32 s66, exec_lo
	s_delay_alu instid0(VALU_DEP_3) | instskip(NEXT) | instid1(VALU_DEP_3)
	v_and_b32_e32 v3, v3, v84
	v_cmp_ne_u32_e64 s65, 0, v85
	s_delay_alu instid0(VALU_DEP_2) | instskip(NEXT) | instid1(VALU_DEP_2)
	v_and_b32_e32 v3, v3, v86
	v_xor_b32_e32 v84, s65, v42
	s_delay_alu instid0(VALU_DEP_1) | instskip(NEXT) | instid1(VALU_DEP_1)
	v_and_b32_e32 v3, v3, v84
	v_mbcnt_lo_u32_b32 v84, v3, 0
	s_delay_alu instid0(VALU_DEP_1)
	v_cmpx_eq_u32_e32 0, v84
	s_cbranch_execz .LBB28_10
; %bb.9:                                ;   in Loop: Header=BB28_2 Depth=1
	v_bcnt_u32_b32 v84, v3, 0
	v_mov_b32_e32 v85, v2
	ds_add_u64 v6, v[84:85]
.LBB28_10:                              ;   in Loop: Header=BB28_2 Depth=1
	s_or_b32 exec_lo, exec_lo, s66
	v_cndmask_b32_e64 v3, 0, 1, s72
	v_cndmask_b32_e64 v84, 0, 1, s24
	v_cndmask_b32_e64 v85, 0, 1, s26
	v_cndmask_b32_e64 v86, 0, 1, s27
	s_delay_alu instid0(VALU_DEP_4) | instskip(SKIP_2) | instid1(VALU_DEP_3)
	v_cmp_ne_u32_e64 s65, 0, v3
	v_cndmask_b32_e64 v3, 0, 1, s25
	v_cmp_ne_u32_e64 s66, 0, v84
	v_xor_b32_e32 v84, s65, v14
	s_delay_alu instid0(VALU_DEP_3) | instskip(NEXT) | instid1(VALU_DEP_3)
	v_cmp_ne_u32_e64 s65, 0, v3
	v_xor_b32_e32 v3, s66, v43
	v_cmp_ne_u32_e64 s66, 0, v85
	s_delay_alu instid0(VALU_DEP_4) | instskip(NEXT) | instid1(VALU_DEP_4)
	v_and_b32_e32 v84, exec_lo, v84
	v_xor_b32_e32 v85, s65, v44
	v_cmp_ne_u32_e64 s65, 0, v86
	s_delay_alu instid0(VALU_DEP_4) | instskip(NEXT) | instid1(VALU_DEP_4)
	v_xor_b32_e32 v86, s66, v45
	v_and_b32_e32 v3, v84, v3
	v_cndmask_b32_e64 v84, 0, 1, s28
	s_delay_alu instid0(VALU_DEP_2) | instskip(SKIP_1) | instid1(VALU_DEP_3)
	v_and_b32_e32 v3, v3, v85
	v_cndmask_b32_e64 v85, 0, 1, s29
	v_cmp_ne_u32_e64 s66, 0, v84
	v_xor_b32_e32 v84, s65, v46
	s_delay_alu instid0(VALU_DEP_4) | instskip(SKIP_3) | instid1(VALU_DEP_4)
	v_and_b32_e32 v3, v3, v86
	v_cndmask_b32_e64 v86, 0, 1, s30
	v_cmp_ne_u32_e64 s65, 0, v85
	v_xor_b32_e32 v85, s66, v47
	v_and_b32_e32 v3, v3, v84
	s_delay_alu instid0(VALU_DEP_4) | instskip(NEXT) | instid1(VALU_DEP_4)
	v_cmp_ne_u32_e64 s66, 0, v86
	v_xor_b32_e32 v84, s65, v48
	s_delay_alu instid0(VALU_DEP_3) | instskip(SKIP_1) | instid1(VALU_DEP_4)
	v_and_b32_e32 v3, v3, v85
	v_cndmask_b32_e64 v85, 0, 1, s31
	v_xor_b32_e32 v86, s66, v49
	s_mov_b32 s66, exec_lo
	s_delay_alu instid0(VALU_DEP_3) | instskip(NEXT) | instid1(VALU_DEP_3)
	v_and_b32_e32 v3, v3, v84
	v_cmp_ne_u32_e64 s65, 0, v85
	s_delay_alu instid0(VALU_DEP_2) | instskip(NEXT) | instid1(VALU_DEP_2)
	v_and_b32_e32 v3, v3, v86
	v_xor_b32_e32 v84, s65, v50
	s_delay_alu instid0(VALU_DEP_1) | instskip(NEXT) | instid1(VALU_DEP_1)
	v_and_b32_e32 v3, v3, v84
	v_mbcnt_lo_u32_b32 v84, v3, 0
	s_delay_alu instid0(VALU_DEP_1)
	v_cmpx_eq_u32_e32 0, v84
	s_cbranch_execz .LBB28_12
; %bb.11:                               ;   in Loop: Header=BB28_2 Depth=1
	v_bcnt_u32_b32 v84, v3, 0
	v_mov_b32_e32 v85, v2
	ds_add_u64 v7, v[84:85]
.LBB28_12:                              ;   in Loop: Header=BB28_2 Depth=1
	s_or_b32 exec_lo, exec_lo, s66
	v_cndmask_b32_e64 v3, 0, 1, s73
	v_cndmask_b32_e64 v84, 0, 1, s33
	v_cndmask_b32_e64 v85, 0, 1, s35
	v_cndmask_b32_e64 v86, 0, 1, s36
	s_delay_alu instid0(VALU_DEP_4) | instskip(SKIP_2) | instid1(VALU_DEP_3)
	v_cmp_ne_u32_e64 s65, 0, v3
	v_cndmask_b32_e64 v3, 0, 1, s34
	v_cmp_ne_u32_e64 s66, 0, v84
	v_xor_b32_e32 v84, s65, v15
	s_delay_alu instid0(VALU_DEP_3) | instskip(NEXT) | instid1(VALU_DEP_3)
	v_cmp_ne_u32_e64 s65, 0, v3
	v_xor_b32_e32 v3, s66, v51
	v_cmp_ne_u32_e64 s66, 0, v85
	s_delay_alu instid0(VALU_DEP_4) | instskip(NEXT) | instid1(VALU_DEP_4)
	v_and_b32_e32 v84, exec_lo, v84
	v_xor_b32_e32 v85, s65, v52
	v_cmp_ne_u32_e64 s65, 0, v86
	s_delay_alu instid0(VALU_DEP_4) | instskip(NEXT) | instid1(VALU_DEP_4)
	v_xor_b32_e32 v86, s66, v53
	v_and_b32_e32 v3, v84, v3
	v_cndmask_b32_e64 v84, 0, 1, s37
	s_delay_alu instid0(VALU_DEP_2) | instskip(SKIP_1) | instid1(VALU_DEP_3)
	v_and_b32_e32 v3, v3, v85
	v_cndmask_b32_e64 v85, 0, 1, s38
	v_cmp_ne_u32_e64 s66, 0, v84
	v_xor_b32_e32 v84, s65, v54
	s_delay_alu instid0(VALU_DEP_4) | instskip(SKIP_3) | instid1(VALU_DEP_4)
	v_and_b32_e32 v3, v3, v86
	v_cndmask_b32_e64 v86, 0, 1, s39
	v_cmp_ne_u32_e64 s65, 0, v85
	v_xor_b32_e32 v85, s66, v55
	v_and_b32_e32 v3, v3, v84
	s_delay_alu instid0(VALU_DEP_4) | instskip(NEXT) | instid1(VALU_DEP_4)
	v_cmp_ne_u32_e64 s66, 0, v86
	v_xor_b32_e32 v84, s65, v56
	s_delay_alu instid0(VALU_DEP_3) | instskip(SKIP_1) | instid1(VALU_DEP_4)
	v_and_b32_e32 v3, v3, v85
	v_cndmask_b32_e64 v85, 0, 1, s40
	v_xor_b32_e32 v86, s66, v57
	s_mov_b32 s66, exec_lo
	s_delay_alu instid0(VALU_DEP_3) | instskip(NEXT) | instid1(VALU_DEP_3)
	v_and_b32_e32 v3, v3, v84
	v_cmp_ne_u32_e64 s65, 0, v85
	s_delay_alu instid0(VALU_DEP_2) | instskip(NEXT) | instid1(VALU_DEP_2)
	v_and_b32_e32 v3, v3, v86
	v_xor_b32_e32 v84, s65, v58
	s_delay_alu instid0(VALU_DEP_1) | instskip(NEXT) | instid1(VALU_DEP_1)
	v_and_b32_e32 v3, v3, v84
	v_mbcnt_lo_u32_b32 v84, v3, 0
	s_delay_alu instid0(VALU_DEP_1)
	v_cmpx_eq_u32_e32 0, v84
	s_cbranch_execz .LBB28_14
; %bb.13:                               ;   in Loop: Header=BB28_2 Depth=1
	v_bcnt_u32_b32 v84, v3, 0
	v_mov_b32_e32 v85, v2
	ds_add_u64 v8, v[84:85]
.LBB28_14:                              ;   in Loop: Header=BB28_2 Depth=1
	;; [unrolled: 58-line block ×4, first 2 shown]
	s_or_b32 exec_lo, exec_lo, s66
	v_cndmask_b32_e64 v3, 0, 1, s76
	v_cndmask_b32_e64 v84, 0, 1, s57
	;; [unrolled: 1-line block ×4, first 2 shown]
	s_delay_alu instid0(VALU_DEP_4) | instskip(SKIP_2) | instid1(VALU_DEP_3)
	v_cmp_ne_u32_e64 s65, 0, v3
	v_cndmask_b32_e64 v3, 0, 1, s58
	v_cmp_ne_u32_e64 s66, 0, v84
	v_xor_b32_e32 v84, s65, v18
	s_delay_alu instid0(VALU_DEP_3) | instskip(NEXT) | instid1(VALU_DEP_3)
	v_cmp_ne_u32_e64 s65, 0, v3
	v_xor_b32_e32 v3, s66, v75
	v_cmp_ne_u32_e64 s66, 0, v85
	s_delay_alu instid0(VALU_DEP_4) | instskip(NEXT) | instid1(VALU_DEP_4)
	v_and_b32_e32 v84, exec_lo, v84
	v_xor_b32_e32 v85, s65, v76
	v_cmp_ne_u32_e64 s65, 0, v86
	s_delay_alu instid0(VALU_DEP_4) | instskip(NEXT) | instid1(VALU_DEP_4)
	v_xor_b32_e32 v86, s66, v77
	v_and_b32_e32 v3, v84, v3
	v_cndmask_b32_e64 v84, 0, 1, s61
	s_delay_alu instid0(VALU_DEP_2) | instskip(SKIP_1) | instid1(VALU_DEP_3)
	v_and_b32_e32 v3, v3, v85
	v_cndmask_b32_e64 v85, 0, 1, s62
	v_cmp_ne_u32_e64 s66, 0, v84
	v_xor_b32_e32 v84, s65, v78
	s_delay_alu instid0(VALU_DEP_4) | instskip(SKIP_3) | instid1(VALU_DEP_4)
	v_and_b32_e32 v3, v3, v86
	v_cndmask_b32_e64 v86, 0, 1, s63
	v_cmp_ne_u32_e64 s65, 0, v85
	v_xor_b32_e32 v85, s66, v79
	v_and_b32_e32 v3, v3, v84
	s_delay_alu instid0(VALU_DEP_4) | instskip(NEXT) | instid1(VALU_DEP_4)
	v_cmp_ne_u32_e64 s66, 0, v86
	v_xor_b32_e32 v84, s65, v80
	s_delay_alu instid0(VALU_DEP_3) | instskip(SKIP_1) | instid1(VALU_DEP_4)
	v_and_b32_e32 v3, v3, v85
	v_cndmask_b32_e64 v85, 0, 1, s64
	v_xor_b32_e32 v86, s66, v81
	s_mov_b32 s66, exec_lo
	s_delay_alu instid0(VALU_DEP_3) | instskip(NEXT) | instid1(VALU_DEP_3)
	v_and_b32_e32 v3, v3, v84
	v_cmp_ne_u32_e64 s65, 0, v85
	s_delay_alu instid0(VALU_DEP_2) | instskip(NEXT) | instid1(VALU_DEP_2)
	v_and_b32_e32 v3, v3, v86
	v_xor_b32_e32 v84, s65, v82
	s_delay_alu instid0(VALU_DEP_1) | instskip(NEXT) | instid1(VALU_DEP_1)
	v_and_b32_e32 v3, v3, v84
	v_mbcnt_lo_u32_b32 v84, v3, 0
	s_delay_alu instid0(VALU_DEP_1)
	v_cmpx_eq_u32_e32 0, v84
	s_cbranch_execz .LBB28_1
; %bb.19:                               ;   in Loop: Header=BB28_2 Depth=1
	v_bcnt_u32_b32 v84, v3, 0
	v_mov_b32_e32 v85, v2
	ds_add_u64 v83, v[84:85]
	s_branch .LBB28_1
.LBB28_20:
	s_and_saveexec_b32 s0, vcc_lo
	s_cbranch_execz .LBB28_22
; %bb.21:
	ds_load_b64 v[3:4], v0
	v_mov_b32_e32 v2, 0
	s_delay_alu instid0(VALU_DEP_1) | instskip(NEXT) | instid1(VALU_DEP_1)
	v_lshlrev_b64 v[0:1], 3, v[1:2]
	v_add_co_u32 v0, vcc_lo, s70, v0
	s_delay_alu instid0(VALU_DEP_2)
	v_add_co_ci_u32_e32 v1, vcc_lo, s71, v1, vcc_lo
	s_waitcnt lgkmcnt(0)
	global_store_b64 v[0:1], v[3:4], off
.LBB28_22:
	s_nop 0
	s_sendmsg sendmsg(MSG_DEALLOC_VGPRS)
	s_endpgm
	.section	.rodata,"a",@progbits
	.p2align	6, 0x0
	.amdhsa_kernel _Z6kernelI9histogramILN6hipcub23BlockHistogramAlgorithmE0EEyLj320ELj8ELj320ELj100EEvPKT0_PS4_
		.amdhsa_group_segment_fixed_size 2560
		.amdhsa_private_segment_fixed_size 0
		.amdhsa_kernarg_size 16
		.amdhsa_user_sgpr_count 15
		.amdhsa_user_sgpr_dispatch_ptr 0
		.amdhsa_user_sgpr_queue_ptr 0
		.amdhsa_user_sgpr_kernarg_segment_ptr 1
		.amdhsa_user_sgpr_dispatch_id 0
		.amdhsa_user_sgpr_private_segment_size 0
		.amdhsa_wavefront_size32 1
		.amdhsa_uses_dynamic_stack 0
		.amdhsa_enable_private_segment 0
		.amdhsa_system_sgpr_workgroup_id_x 1
		.amdhsa_system_sgpr_workgroup_id_y 0
		.amdhsa_system_sgpr_workgroup_id_z 0
		.amdhsa_system_sgpr_workgroup_info 0
		.amdhsa_system_vgpr_workitem_id 0
		.amdhsa_next_free_vgpr 139
		.amdhsa_next_free_sgpr 78
		.amdhsa_reserve_vcc 1
		.amdhsa_float_round_mode_32 0
		.amdhsa_float_round_mode_16_64 0
		.amdhsa_float_denorm_mode_32 3
		.amdhsa_float_denorm_mode_16_64 3
		.amdhsa_dx10_clamp 1
		.amdhsa_ieee_mode 1
		.amdhsa_fp16_overflow 0
		.amdhsa_workgroup_processor_mode 1
		.amdhsa_memory_ordered 1
		.amdhsa_forward_progress 0
		.amdhsa_shared_vgpr_count 0
		.amdhsa_exception_fp_ieee_invalid_op 0
		.amdhsa_exception_fp_denorm_src 0
		.amdhsa_exception_fp_ieee_div_zero 0
		.amdhsa_exception_fp_ieee_overflow 0
		.amdhsa_exception_fp_ieee_underflow 0
		.amdhsa_exception_fp_ieee_inexact 0
		.amdhsa_exception_int_div_zero 0
	.end_amdhsa_kernel
	.section	.text._Z6kernelI9histogramILN6hipcub23BlockHistogramAlgorithmE0EEyLj320ELj8ELj320ELj100EEvPKT0_PS4_,"axG",@progbits,_Z6kernelI9histogramILN6hipcub23BlockHistogramAlgorithmE0EEyLj320ELj8ELj320ELj100EEvPKT0_PS4_,comdat
.Lfunc_end28:
	.size	_Z6kernelI9histogramILN6hipcub23BlockHistogramAlgorithmE0EEyLj320ELj8ELj320ELj100EEvPKT0_PS4_, .Lfunc_end28-_Z6kernelI9histogramILN6hipcub23BlockHistogramAlgorithmE0EEyLj320ELj8ELj320ELj100EEvPKT0_PS4_
                                        ; -- End function
	.section	.AMDGPU.csdata,"",@progbits
; Kernel info:
; codeLenInByte = 4140
; NumSgprs: 80
; NumVgprs: 139
; ScratchSize: 0
; MemoryBound: 0
; FloatMode: 240
; IeeeMode: 1
; LDSByteSize: 2560 bytes/workgroup (compile time only)
; SGPRBlocks: 9
; VGPRBlocks: 17
; NumSGPRsForWavesPerEU: 80
; NumVGPRsForWavesPerEU: 139
; Occupancy: 10
; WaveLimiterHint : 0
; COMPUTE_PGM_RSRC2:SCRATCH_EN: 0
; COMPUTE_PGM_RSRC2:USER_SGPR: 15
; COMPUTE_PGM_RSRC2:TRAP_HANDLER: 0
; COMPUTE_PGM_RSRC2:TGID_X_EN: 1
; COMPUTE_PGM_RSRC2:TGID_Y_EN: 0
; COMPUTE_PGM_RSRC2:TGID_Z_EN: 0
; COMPUTE_PGM_RSRC2:TIDIG_COMP_CNT: 0
	.section	.text._Z6kernelI9histogramILN6hipcub23BlockHistogramAlgorithmE0EEyLj320ELj16ELj320ELj100EEvPKT0_PS4_,"axG",@progbits,_Z6kernelI9histogramILN6hipcub23BlockHistogramAlgorithmE0EEyLj320ELj16ELj320ELj100EEvPKT0_PS4_,comdat
	.protected	_Z6kernelI9histogramILN6hipcub23BlockHistogramAlgorithmE0EEyLj320ELj16ELj320ELj100EEvPKT0_PS4_ ; -- Begin function _Z6kernelI9histogramILN6hipcub23BlockHistogramAlgorithmE0EEyLj320ELj16ELj320ELj100EEvPKT0_PS4_
	.globl	_Z6kernelI9histogramILN6hipcub23BlockHistogramAlgorithmE0EEyLj320ELj16ELj320ELj100EEvPKT0_PS4_
	.p2align	8
	.type	_Z6kernelI9histogramILN6hipcub23BlockHistogramAlgorithmE0EEyLj320ELj16ELj320ELj100EEvPKT0_PS4_,@function
_Z6kernelI9histogramILN6hipcub23BlockHistogramAlgorithmE0EEyLj320ELj16ELj320ELj100EEvPKT0_PS4_: ; @_Z6kernelI9histogramILN6hipcub23BlockHistogramAlgorithmE0EEyLj320ELj16ELj320ELj100EEvPKT0_PS4_
; %bb.0:
	s_load_b128 s[0:3], s[0:1], 0x0
	v_mad_u64_u32 v[24:25], null, 0x140, s15, v[0:1]
	v_mov_b32_e32 v25, 0
                                        ; implicit-def: $vgpr168 : SGPR spill to VGPR lane
                                        ; implicit-def: $vgpr167 : SGPR spill to VGPR lane
	s_movk_i32 s36, 0x64
	s_delay_alu instid0(VALU_DEP_1) | instskip(NEXT) | instid1(VALU_DEP_1)
	v_dual_mov_b32 v2, v25 :: v_dual_lshlrev_b32 v1, 4, v24
	v_lshlrev_b64 v[1:2], 3, v[1:2]
	s_waitcnt lgkmcnt(0)
	s_delay_alu instid0(VALU_DEP_1) | instskip(SKIP_1) | instid1(VALU_DEP_3)
	v_add_co_u32 v11, vcc_lo, s0, v1
	v_writelane_b32 v168, s0, 0
	v_add_co_ci_u32_e32 v12, vcc_lo, s1, v2, vcc_lo
	v_writelane_b32 v168, s1, 1
	s_clause 0x5
	global_load_b128 v[14:17], v[11:12], off offset:48
	global_load_b128 v[17:20], v[11:12], off offset:32
	;; [unrolled: 1-line block ×3, first 2 shown]
	global_load_b128 v[35:38], v[11:12], off
	global_load_b128 v[1:4], v[11:12], off offset:112
	global_load_b128 v[4:7], v[11:12], off offset:96
	v_writelane_b32 v168, s2, 2
	s_clause 0x1
	global_load_b128 v[7:10], v[11:12], off offset:80
	global_load_b128 v[10:13], v[11:12], off offset:64
	v_writelane_b32 v168, s3, 3
	v_cmp_gt_u32_e64 s0, 0x140, v0
	v_lshlrev_b32_e32 v0, 3, v0
	s_delay_alu instid0(VALU_DEP_2)
	v_writelane_b32 v168, s0, 4
	s_waitcnt vmcnt(3)
	v_and_b32_e32 v2, 1, v35
	s_waitcnt vmcnt(2)
	v_lshlrev_b32_e32 v5, 30, v35
	s_waitcnt vmcnt(1)
	v_lshlrev_b32_e32 v8, 29, v35
	;; [unrolled: 2-line block ×3, first 2 shown]
	v_lshlrev_b32_e32 v13, 27, v35
	v_add_co_u32 v2, s0, v2, -1
	s_delay_alu instid0(VALU_DEP_1)
	v_writelane_b32 v168, s0, 5
	v_cmp_gt_i32_e64 s0, 0, v5
	v_lshlrev_b32_e32 v15, 26, v35
	v_lshlrev_b32_e32 v18, 25, v35
	;; [unrolled: 1-line block ×4, first 2 shown]
	v_writelane_b32 v168, s0, 6
	v_cmp_gt_i32_e64 s0, 0, v8
	v_and_b32_e32 v26, 1, v37
	v_lshlrev_b32_e32 v27, 3, v35
	v_not_b32_e32 v5, v5
	v_not_b32_e32 v8, v8
	v_writelane_b32 v168, s0, 7
	v_cmp_gt_i32_e64 s0, 0, v11
	v_not_b32_e32 v11, v11
	v_ashrrev_i32_e32 v5, 31, v5
	v_ashrrev_i32_e32 v8, 31, v8
	s_delay_alu instid0(VALU_DEP_4) | instskip(SKIP_3) | instid1(VALU_DEP_3)
	v_writelane_b32 v168, s0, 8
	v_cmp_gt_i32_e64 s0, 0, v13
	v_not_b32_e32 v13, v13
	v_ashrrev_i32_e32 v11, 31, v11
	v_writelane_b32 v168, s0, 9
	v_cmp_gt_i32_e64 s0, 0, v15
	v_not_b32_e32 v15, v15
	v_ashrrev_i32_e32 v13, 31, v13
	s_delay_alu instid0(VALU_DEP_3) | instskip(SKIP_3) | instid1(VALU_DEP_3)
	v_writelane_b32 v168, s0, 10
	v_cmp_gt_i32_e64 s0, 0, v18
	v_not_b32_e32 v18, v18
	v_ashrrev_i32_e32 v15, 31, v15
	v_writelane_b32 v168, s0, 11
	v_cmp_gt_i32_e64 s0, 0, v21
	v_not_b32_e32 v21, v21
	v_ashrrev_i32_e32 v18, 31, v18
	s_delay_alu instid0(VALU_DEP_3) | instskip(SKIP_3) | instid1(VALU_DEP_3)
	v_writelane_b32 v168, s0, 12
	v_cmp_gt_i32_e64 s0, 0, v23
	v_not_b32_e32 v23, v23
	v_ashrrev_i32_e32 v21, 31, v21
	v_writelane_b32 v168, s0, 13
	v_add_co_u32 v28, s0, v26, -1
	v_lshlrev_b32_e32 v26, 30, v37
	v_ashrrev_i32_e32 v23, 31, v23
	v_writelane_b32 v168, s0, 14
	s_delay_alu instid0(VALU_DEP_3) | instskip(SKIP_1) | instid1(VALU_DEP_2)
	v_cmp_gt_i32_e64 s0, 0, v26
	v_not_b32_e32 v26, v26
	v_writelane_b32 v168, s0, 15
	s_delay_alu instid0(VALU_DEP_2) | instskip(SKIP_1) | instid1(VALU_DEP_1)
	v_ashrrev_i32_e32 v29, 31, v26
	v_lshlrev_b32_e32 v26, 29, v37
	v_cmp_gt_i32_e64 s0, 0, v26
	v_not_b32_e32 v26, v26
	s_delay_alu instid0(VALU_DEP_2) | instskip(NEXT) | instid1(VALU_DEP_2)
	v_writelane_b32 v168, s0, 16
	v_ashrrev_i32_e32 v30, 31, v26
	v_lshlrev_b32_e32 v26, 28, v37
	s_delay_alu instid0(VALU_DEP_1) | instskip(SKIP_1) | instid1(VALU_DEP_2)
	v_cmp_gt_i32_e64 s0, 0, v26
	v_not_b32_e32 v26, v26
	v_writelane_b32 v168, s0, 17
	s_delay_alu instid0(VALU_DEP_2) | instskip(SKIP_1) | instid1(VALU_DEP_1)
	v_ashrrev_i32_e32 v31, 31, v26
	v_lshlrev_b32_e32 v26, 27, v37
	v_cmp_gt_i32_e64 s0, 0, v26
	v_not_b32_e32 v26, v26
	s_delay_alu instid0(VALU_DEP_2) | instskip(NEXT) | instid1(VALU_DEP_2)
	v_writelane_b32 v168, s0, 18
	v_ashrrev_i32_e32 v32, 31, v26
	v_lshlrev_b32_e32 v26, 26, v37
	s_delay_alu instid0(VALU_DEP_1) | instskip(SKIP_1) | instid1(VALU_DEP_2)
	v_cmp_gt_i32_e64 s0, 0, v26
	v_not_b32_e32 v26, v26
	v_writelane_b32 v168, s0, 19
	s_delay_alu instid0(VALU_DEP_2) | instskip(SKIP_1) | instid1(VALU_DEP_1)
	v_ashrrev_i32_e32 v33, 31, v26
	v_lshlrev_b32_e32 v26, 25, v37
	v_cmp_gt_i32_e64 s0, 0, v26
	v_not_b32_e32 v26, v26
	s_delay_alu instid0(VALU_DEP_2) | instskip(NEXT) | instid1(VALU_DEP_2)
	v_writelane_b32 v168, s0, 20
	v_ashrrev_i32_e32 v34, 31, v26
	v_lshlrev_b32_e32 v26, 24, v37
	s_delay_alu instid0(VALU_DEP_1) | instskip(SKIP_1) | instid1(VALU_DEP_2)
	v_cmp_gt_i32_e64 s0, 0, v26
	v_not_b32_e32 v26, v26
	v_writelane_b32 v168, s0, 21
	s_delay_alu instid0(VALU_DEP_2) | instskip(SKIP_2) | instid1(VALU_DEP_2)
	v_ashrrev_i32_e32 v35, 31, v26
	v_lshlrev_b32_e32 v26, 23, v37
	v_lshlrev_b32_e32 v37, 3, v37
	v_cmp_gt_i32_e64 s0, 0, v26
	v_not_b32_e32 v26, v26
	s_delay_alu instid0(VALU_DEP_2) | instskip(NEXT) | instid1(VALU_DEP_2)
	v_writelane_b32 v168, s0, 22
	v_ashrrev_i32_e32 v36, 31, v26
	v_and_b32_e32 v26, 1, v20
	s_delay_alu instid0(VALU_DEP_1) | instskip(SKIP_2) | instid1(VALU_DEP_2)
	v_add_co_u32 v38, s0, v26, -1
	v_lshlrev_b32_e32 v26, 30, v20
	v_writelane_b32 v168, s0, 23
	v_cmp_gt_i32_e64 s0, 0, v26
	v_not_b32_e32 v26, v26
	s_delay_alu instid0(VALU_DEP_2) | instskip(NEXT) | instid1(VALU_DEP_2)
	v_writelane_b32 v168, s0, 24
	v_ashrrev_i32_e32 v39, 31, v26
	v_lshlrev_b32_e32 v26, 29, v20
	s_delay_alu instid0(VALU_DEP_1) | instskip(SKIP_1) | instid1(VALU_DEP_2)
	v_cmp_gt_i32_e64 s0, 0, v26
	v_not_b32_e32 v26, v26
	v_writelane_b32 v168, s0, 25
	s_delay_alu instid0(VALU_DEP_2) | instskip(SKIP_1) | instid1(VALU_DEP_1)
	v_ashrrev_i32_e32 v40, 31, v26
	v_lshlrev_b32_e32 v26, 28, v20
	v_cmp_gt_i32_e64 s0, 0, v26
	v_not_b32_e32 v26, v26
	s_delay_alu instid0(VALU_DEP_2) | instskip(NEXT) | instid1(VALU_DEP_2)
	v_writelane_b32 v168, s0, 26
	v_ashrrev_i32_e32 v41, 31, v26
	v_lshlrev_b32_e32 v26, 27, v20
	s_delay_alu instid0(VALU_DEP_1) | instskip(SKIP_1) | instid1(VALU_DEP_2)
	v_cmp_gt_i32_e64 s0, 0, v26
	v_not_b32_e32 v26, v26
	v_writelane_b32 v168, s0, 27
	s_delay_alu instid0(VALU_DEP_2) | instskip(SKIP_1) | instid1(VALU_DEP_1)
	v_ashrrev_i32_e32 v42, 31, v26
	v_lshlrev_b32_e32 v26, 26, v20
	;; [unrolled: 13-line block ×3, first 2 shown]
	v_cmp_gt_i32_e64 s0, 0, v26
	v_not_b32_e32 v26, v26
	s_delay_alu instid0(VALU_DEP_2) | instskip(NEXT) | instid1(VALU_DEP_2)
	v_writelane_b32 v168, s0, 30
	v_ashrrev_i32_e32 v45, 31, v26
	v_lshlrev_b32_e32 v26, 23, v20
	v_lshlrev_b32_e32 v20, 3, v20
	s_delay_alu instid0(VALU_DEP_2) | instskip(SKIP_1) | instid1(VALU_DEP_2)
	v_cmp_gt_i32_e64 s0, 0, v26
	v_not_b32_e32 v26, v26
	v_writelane_b32 v168, s0, 31
	s_delay_alu instid0(VALU_DEP_2) | instskip(SKIP_1) | instid1(VALU_DEP_1)
	v_ashrrev_i32_e32 v46, 31, v26
	v_and_b32_e32 v26, 1, v22
	v_add_co_u32 v47, s0, v26, -1
	v_lshlrev_b32_e32 v26, 30, v22
	v_writelane_b32 v167, s0, 0
	s_delay_alu instid0(VALU_DEP_2) | instskip(SKIP_1) | instid1(VALU_DEP_2)
	v_cmp_gt_i32_e64 s0, 0, v26
	v_not_b32_e32 v26, v26
	v_writelane_b32 v167, s0, 1
	s_delay_alu instid0(VALU_DEP_2) | instskip(SKIP_1) | instid1(VALU_DEP_1)
	v_ashrrev_i32_e32 v48, 31, v26
	v_lshlrev_b32_e32 v26, 29, v22
	v_cmp_gt_i32_e64 s0, 0, v26
	v_not_b32_e32 v26, v26
	s_delay_alu instid0(VALU_DEP_2) | instskip(NEXT) | instid1(VALU_DEP_2)
	v_writelane_b32 v167, s0, 2
	v_ashrrev_i32_e32 v49, 31, v26
	v_lshlrev_b32_e32 v26, 28, v22
	s_delay_alu instid0(VALU_DEP_1) | instskip(SKIP_1) | instid1(VALU_DEP_2)
	v_cmp_gt_i32_e64 s0, 0, v26
	v_not_b32_e32 v26, v26
	v_writelane_b32 v167, s0, 3
	s_delay_alu instid0(VALU_DEP_2) | instskip(SKIP_1) | instid1(VALU_DEP_1)
	v_ashrrev_i32_e32 v50, 31, v26
	v_lshlrev_b32_e32 v26, 27, v22
	v_cmp_gt_i32_e64 s0, 0, v26
	v_not_b32_e32 v26, v26
	s_delay_alu instid0(VALU_DEP_2) | instskip(NEXT) | instid1(VALU_DEP_2)
	v_writelane_b32 v167, s0, 4
	v_ashrrev_i32_e32 v51, 31, v26
	v_lshlrev_b32_e32 v26, 26, v22
	s_delay_alu instid0(VALU_DEP_1) | instskip(SKIP_1) | instid1(VALU_DEP_2)
	;; [unrolled: 13-line block ×3, first 2 shown]
	v_cmp_gt_i32_e64 s0, 0, v26
	v_not_b32_e32 v26, v26
	v_writelane_b32 v167, s0, 7
	s_delay_alu instid0(VALU_DEP_2) | instskip(SKIP_2) | instid1(VALU_DEP_2)
	v_ashrrev_i32_e32 v54, 31, v26
	v_lshlrev_b32_e32 v26, 23, v22
	v_lshlrev_b32_e32 v22, 3, v22
	v_cmp_gt_i32_e64 s0, 0, v26
	v_not_b32_e32 v26, v26
	s_delay_alu instid0(VALU_DEP_2) | instskip(NEXT) | instid1(VALU_DEP_2)
	v_writelane_b32 v167, s0, 8
	v_ashrrev_i32_e32 v55, 31, v26
	v_and_b32_e32 v26, 1, v17
	s_delay_alu instid0(VALU_DEP_1) | instskip(SKIP_2) | instid1(VALU_DEP_2)
	v_add_co_u32 v56, s0, v26, -1
	v_lshlrev_b32_e32 v26, 30, v17
	v_writelane_b32 v167, s0, 9
	v_cmp_gt_i32_e64 s0, 0, v26
	v_not_b32_e32 v26, v26
	s_delay_alu instid0(VALU_DEP_2) | instskip(NEXT) | instid1(VALU_DEP_2)
	v_writelane_b32 v167, s0, 10
	v_ashrrev_i32_e32 v57, 31, v26
	v_lshlrev_b32_e32 v26, 29, v17
	s_delay_alu instid0(VALU_DEP_1) | instskip(SKIP_1) | instid1(VALU_DEP_2)
	v_cmp_gt_i32_e64 s0, 0, v26
	v_not_b32_e32 v26, v26
	v_writelane_b32 v167, s0, 11
	s_delay_alu instid0(VALU_DEP_2) | instskip(SKIP_1) | instid1(VALU_DEP_1)
	v_ashrrev_i32_e32 v58, 31, v26
	v_lshlrev_b32_e32 v26, 28, v17
	v_cmp_gt_i32_e64 s0, 0, v26
	v_not_b32_e32 v26, v26
	s_delay_alu instid0(VALU_DEP_2) | instskip(NEXT) | instid1(VALU_DEP_2)
	v_writelane_b32 v167, s0, 12
	v_ashrrev_i32_e32 v59, 31, v26
	v_lshlrev_b32_e32 v26, 27, v17
	s_delay_alu instid0(VALU_DEP_1) | instskip(SKIP_1) | instid1(VALU_DEP_2)
	v_cmp_gt_i32_e64 s0, 0, v26
	v_not_b32_e32 v26, v26
	v_writelane_b32 v167, s0, 13
	s_delay_alu instid0(VALU_DEP_2) | instskip(SKIP_1) | instid1(VALU_DEP_1)
	v_ashrrev_i32_e32 v60, 31, v26
	v_lshlrev_b32_e32 v26, 26, v17
	v_cmp_gt_i32_e64 s37, 0, v26
	v_not_b32_e32 v26, v26
	s_delay_alu instid0(VALU_DEP_1) | instskip(SKIP_1) | instid1(VALU_DEP_1)
	v_ashrrev_i32_e32 v61, 31, v26
	v_lshlrev_b32_e32 v26, 25, v17
	v_cmp_gt_i32_e64 s38, 0, v26
	v_not_b32_e32 v26, v26
	s_delay_alu instid0(VALU_DEP_1) | instskip(SKIP_1) | instid1(VALU_DEP_1)
	v_ashrrev_i32_e32 v62, 31, v26
	v_lshlrev_b32_e32 v26, 24, v17
	v_cmp_gt_i32_e64 s39, 0, v26
	v_not_b32_e32 v26, v26
	s_delay_alu instid0(VALU_DEP_1) | instskip(SKIP_2) | instid1(VALU_DEP_2)
	v_ashrrev_i32_e32 v63, 31, v26
	v_lshlrev_b32_e32 v26, 23, v17
	v_lshlrev_b32_e32 v17, 3, v17
	v_cmp_gt_i32_e64 s40, 0, v26
	v_not_b32_e32 v26, v26
	s_delay_alu instid0(VALU_DEP_1) | instskip(SKIP_1) | instid1(VALU_DEP_1)
	v_ashrrev_i32_e32 v64, 31, v26
	v_and_b32_e32 v26, 1, v19
	v_add_co_u32 v65, s25, v26, -1
	v_lshlrev_b32_e32 v26, 30, v19
	s_delay_alu instid0(VALU_DEP_1) | instskip(SKIP_1) | instid1(VALU_DEP_1)
	v_cmp_gt_i32_e64 s41, 0, v26
	v_not_b32_e32 v26, v26
	v_ashrrev_i32_e32 v66, 31, v26
	v_lshlrev_b32_e32 v26, 29, v19
	s_delay_alu instid0(VALU_DEP_1) | instskip(SKIP_1) | instid1(VALU_DEP_1)
	v_cmp_gt_i32_e64 s42, 0, v26
	v_not_b32_e32 v26, v26
	v_ashrrev_i32_e32 v67, 31, v26
	;; [unrolled: 5-line block ×7, first 2 shown]
	v_lshlrev_b32_e32 v26, 23, v19
	v_lshlrev_b32_e32 v19, 3, v19
	s_delay_alu instid0(VALU_DEP_2) | instskip(SKIP_1) | instid1(VALU_DEP_1)
	v_cmp_gt_i32_e64 s48, 0, v26
	v_not_b32_e32 v26, v26
	v_ashrrev_i32_e32 v73, 31, v26
	v_and_b32_e32 v26, 1, v14
	s_delay_alu instid0(VALU_DEP_1) | instskip(SKIP_1) | instid1(VALU_DEP_1)
	v_add_co_u32 v74, s26, v26, -1
	v_lshlrev_b32_e32 v26, 30, v14
	v_cmp_gt_i32_e64 s49, 0, v26
	v_not_b32_e32 v26, v26
	s_delay_alu instid0(VALU_DEP_1) | instskip(SKIP_1) | instid1(VALU_DEP_1)
	v_ashrrev_i32_e32 v75, 31, v26
	v_lshlrev_b32_e32 v26, 29, v14
	v_cmp_gt_i32_e64 s50, 0, v26
	v_not_b32_e32 v26, v26
	s_delay_alu instid0(VALU_DEP_1) | instskip(SKIP_1) | instid1(VALU_DEP_1)
	v_ashrrev_i32_e32 v76, 31, v26
	;; [unrolled: 5-line block ×6, first 2 shown]
	v_lshlrev_b32_e32 v26, 24, v14
	v_cmp_gt_i32_e64 s55, 0, v26
	v_not_b32_e32 v26, v26
	s_delay_alu instid0(VALU_DEP_1) | instskip(SKIP_2) | instid1(VALU_DEP_2)
	v_ashrrev_i32_e32 v81, 31, v26
	v_lshlrev_b32_e32 v26, 23, v14
	v_lshlrev_b32_e32 v14, 3, v14
	v_cmp_gt_i32_e64 s56, 0, v26
	v_not_b32_e32 v26, v26
	s_delay_alu instid0(VALU_DEP_1) | instskip(SKIP_1) | instid1(VALU_DEP_1)
	v_ashrrev_i32_e32 v82, 31, v26
	v_and_b32_e32 v26, 1, v16
	v_add_co_u32 v83, s27, v26, -1
	v_lshlrev_b32_e32 v26, 30, v16
	s_delay_alu instid0(VALU_DEP_1) | instskip(SKIP_1) | instid1(VALU_DEP_1)
	v_cmp_gt_i32_e64 s57, 0, v26
	v_not_b32_e32 v26, v26
	v_ashrrev_i32_e32 v84, 31, v26
	v_lshlrev_b32_e32 v26, 29, v16
	s_delay_alu instid0(VALU_DEP_1) | instskip(SKIP_1) | instid1(VALU_DEP_1)
	v_cmp_gt_i32_e64 s58, 0, v26
	v_not_b32_e32 v26, v26
	v_ashrrev_i32_e32 v85, 31, v26
	;; [unrolled: 5-line block ×7, first 2 shown]
	v_lshlrev_b32_e32 v26, 23, v16
	v_lshlrev_b32_e32 v16, 3, v16
	s_delay_alu instid0(VALU_DEP_2) | instskip(SKIP_1) | instid1(VALU_DEP_1)
	v_cmp_gt_i32_e64 s64, 0, v26
	v_not_b32_e32 v26, v26
	v_ashrrev_i32_e32 v91, 31, v26
	v_and_b32_e32 v26, 1, v10
	s_delay_alu instid0(VALU_DEP_1) | instskip(SKIP_1) | instid1(VALU_DEP_1)
	v_add_co_u32 v92, s28, v26, -1
	v_lshlrev_b32_e32 v26, 30, v10
	v_cmp_gt_i32_e64 s65, 0, v26
	v_not_b32_e32 v26, v26
	s_delay_alu instid0(VALU_DEP_1) | instskip(SKIP_1) | instid1(VALU_DEP_1)
	v_ashrrev_i32_e32 v93, 31, v26
	v_lshlrev_b32_e32 v26, 29, v10
	v_cmp_gt_i32_e64 s66, 0, v26
	v_not_b32_e32 v26, v26
	s_delay_alu instid0(VALU_DEP_1) | instskip(SKIP_1) | instid1(VALU_DEP_1)
	v_ashrrev_i32_e32 v94, 31, v26
	;; [unrolled: 5-line block ×6, first 2 shown]
	v_lshlrev_b32_e32 v26, 24, v10
	v_cmp_gt_i32_e64 s71, 0, v26
	v_not_b32_e32 v26, v26
	s_delay_alu instid0(VALU_DEP_1) | instskip(SKIP_2) | instid1(VALU_DEP_2)
	v_ashrrev_i32_e32 v99, 31, v26
	v_lshlrev_b32_e32 v26, 23, v10
	v_lshlrev_b32_e32 v10, 3, v10
	v_cmp_gt_i32_e64 s72, 0, v26
	v_not_b32_e32 v26, v26
	s_delay_alu instid0(VALU_DEP_1) | instskip(SKIP_1) | instid1(VALU_DEP_1)
	v_ashrrev_i32_e32 v100, 31, v26
	v_and_b32_e32 v26, 1, v12
	v_add_co_u32 v101, s29, v26, -1
	v_lshlrev_b32_e32 v26, 30, v12
	s_delay_alu instid0(VALU_DEP_1) | instskip(SKIP_1) | instid1(VALU_DEP_1)
	v_cmp_gt_i32_e64 s73, 0, v26
	v_not_b32_e32 v26, v26
	v_ashrrev_i32_e32 v102, 31, v26
	v_lshlrev_b32_e32 v26, 29, v12
	s_delay_alu instid0(VALU_DEP_1) | instskip(SKIP_1) | instid1(VALU_DEP_1)
	v_cmp_gt_i32_e64 s74, 0, v26
	v_not_b32_e32 v26, v26
	v_ashrrev_i32_e32 v103, 31, v26
	;; [unrolled: 5-line block ×7, first 2 shown]
	v_lshlrev_b32_e32 v26, 23, v12
	v_lshlrev_b32_e32 v12, 3, v12
	s_delay_alu instid0(VALU_DEP_2) | instskip(SKIP_1) | instid1(VALU_DEP_1)
	v_cmp_gt_i32_e64 s80, 0, v26
	v_not_b32_e32 v26, v26
	v_ashrrev_i32_e32 v109, 31, v26
	v_and_b32_e32 v26, 1, v7
	s_delay_alu instid0(VALU_DEP_1) | instskip(SKIP_1) | instid1(VALU_DEP_1)
	v_add_co_u32 v110, s30, v26, -1
	v_lshlrev_b32_e32 v26, 30, v7
	v_cmp_gt_i32_e64 s81, 0, v26
	v_not_b32_e32 v26, v26
	s_delay_alu instid0(VALU_DEP_1) | instskip(SKIP_1) | instid1(VALU_DEP_1)
	v_ashrrev_i32_e32 v111, 31, v26
	v_lshlrev_b32_e32 v26, 29, v7
	v_cmp_gt_i32_e64 s82, 0, v26
	v_not_b32_e32 v26, v26
	s_delay_alu instid0(VALU_DEP_1) | instskip(SKIP_1) | instid1(VALU_DEP_1)
	v_ashrrev_i32_e32 v112, 31, v26
	;; [unrolled: 5-line block ×6, first 2 shown]
	v_lshlrev_b32_e32 v26, 24, v7
	v_cmp_gt_i32_e64 s87, 0, v26
	v_not_b32_e32 v26, v26
	s_delay_alu instid0(VALU_DEP_1) | instskip(SKIP_2) | instid1(VALU_DEP_2)
	v_ashrrev_i32_e32 v117, 31, v26
	v_lshlrev_b32_e32 v26, 23, v7
	v_lshlrev_b32_e32 v7, 3, v7
	v_cmp_gt_i32_e64 s88, 0, v26
	v_not_b32_e32 v26, v26
	s_delay_alu instid0(VALU_DEP_1) | instskip(SKIP_1) | instid1(VALU_DEP_1)
	v_ashrrev_i32_e32 v118, 31, v26
	v_and_b32_e32 v26, 1, v9
	v_add_co_u32 v119, s31, v26, -1
	v_lshlrev_b32_e32 v26, 30, v9
	s_delay_alu instid0(VALU_DEP_1) | instskip(SKIP_1) | instid1(VALU_DEP_1)
	v_cmp_gt_i32_e64 s89, 0, v26
	v_not_b32_e32 v26, v26
	v_ashrrev_i32_e32 v120, 31, v26
	v_lshlrev_b32_e32 v26, 29, v9
	s_delay_alu instid0(VALU_DEP_1) | instskip(SKIP_1) | instid1(VALU_DEP_1)
	v_cmp_gt_i32_e64 s90, 0, v26
	v_not_b32_e32 v26, v26
	v_ashrrev_i32_e32 v121, 31, v26
	;; [unrolled: 5-line block ×7, first 2 shown]
	v_lshlrev_b32_e32 v26, 23, v9
	v_lshlrev_b32_e32 v9, 3, v9
	s_delay_alu instid0(VALU_DEP_2) | instskip(SKIP_1) | instid1(VALU_DEP_1)
	v_cmp_gt_i32_e64 s96, 0, v26
	v_not_b32_e32 v26, v26
	v_ashrrev_i32_e32 v127, 31, v26
	v_and_b32_e32 v26, 1, v4
	s_delay_alu instid0(VALU_DEP_1) | instskip(SKIP_1) | instid1(VALU_DEP_1)
	v_add_co_u32 v128, s24, v26, -1
	v_lshlrev_b32_e32 v26, 30, v4
	v_cmp_gt_i32_e64 s97, 0, v26
	v_not_b32_e32 v26, v26
	s_delay_alu instid0(VALU_DEP_1) | instskip(SKIP_1) | instid1(VALU_DEP_1)
	v_ashrrev_i32_e32 v129, 31, v26
	v_lshlrev_b32_e32 v26, 29, v4
	v_cmp_gt_i32_e64 s98, 0, v26
	v_not_b32_e32 v26, v26
	s_delay_alu instid0(VALU_DEP_1) | instskip(SKIP_1) | instid1(VALU_DEP_1)
	v_ashrrev_i32_e32 v130, 31, v26
	;; [unrolled: 5-line block ×6, first 2 shown]
	v_lshlrev_b32_e32 v26, 24, v4
	v_cmp_gt_i32_e64 s103, 0, v26
	v_not_b32_e32 v26, v26
	s_delay_alu instid0(VALU_DEP_1) | instskip(SKIP_2) | instid1(VALU_DEP_2)
	v_ashrrev_i32_e32 v135, 31, v26
	v_lshlrev_b32_e32 v26, 23, v4
	v_lshlrev_b32_e32 v4, 3, v4
	v_cmp_gt_i32_e64 s104, 0, v26
	v_not_b32_e32 v26, v26
	s_delay_alu instid0(VALU_DEP_1) | instskip(SKIP_1) | instid1(VALU_DEP_1)
	v_ashrrev_i32_e32 v136, 31, v26
	v_and_b32_e32 v26, 1, v6
	v_add_co_u32 v137, s33, v26, -1
	v_lshlrev_b32_e32 v26, 30, v6
	s_delay_alu instid0(VALU_DEP_1) | instskip(SKIP_1) | instid1(VALU_DEP_1)
	v_cmp_gt_i32_e64 vcc_hi, 0, v26
	v_not_b32_e32 v26, v26
	v_ashrrev_i32_e32 v138, 31, v26
	v_lshlrev_b32_e32 v26, 29, v6
	s_delay_alu instid0(VALU_DEP_1) | instskip(SKIP_1) | instid1(VALU_DEP_1)
	v_cmp_gt_i32_e64 s1, 0, v26
	v_not_b32_e32 v26, v26
	v_ashrrev_i32_e32 v139, 31, v26
	v_lshlrev_b32_e32 v26, 28, v6
	s_delay_alu instid0(VALU_DEP_1) | instskip(SKIP_1) | instid1(VALU_DEP_1)
	v_cmp_gt_i32_e64 s2, 0, v26
	;; [unrolled: 5-line block ×6, first 2 shown]
	v_not_b32_e32 v26, v26
	v_ashrrev_i32_e32 v144, 31, v26
	v_lshlrev_b32_e32 v26, 23, v6
	v_lshlrev_b32_e32 v6, 3, v6
	s_delay_alu instid0(VALU_DEP_2) | instskip(SKIP_1) | instid1(VALU_DEP_1)
	v_cmp_gt_i32_e64 s7, 0, v26
	v_not_b32_e32 v26, v26
	v_ashrrev_i32_e32 v145, 31, v26
	v_and_b32_e32 v26, 1, v1
	s_delay_alu instid0(VALU_DEP_1) | instskip(SKIP_1) | instid1(VALU_DEP_1)
	v_add_co_u32 v146, s34, v26, -1
	v_lshlrev_b32_e32 v26, 30, v1
	v_cmp_gt_i32_e64 s0, 0, v26
	v_not_b32_e32 v26, v26
	s_delay_alu instid0(VALU_DEP_1) | instskip(SKIP_1) | instid1(VALU_DEP_1)
	v_ashrrev_i32_e32 v147, 31, v26
	v_lshlrev_b32_e32 v26, 29, v1
	v_cmp_gt_i32_e64 s8, 0, v26
	v_not_b32_e32 v26, v26
	s_delay_alu instid0(VALU_DEP_1) | instskip(SKIP_1) | instid1(VALU_DEP_1)
	v_ashrrev_i32_e32 v148, 31, v26
	;; [unrolled: 5-line block ×6, first 2 shown]
	v_lshlrev_b32_e32 v26, 24, v1
	v_cmp_gt_i32_e64 s13, 0, v26
	v_not_b32_e32 v26, v26
	s_delay_alu instid0(VALU_DEP_1) | instskip(SKIP_2) | instid1(VALU_DEP_2)
	v_ashrrev_i32_e32 v153, 31, v26
	v_lshlrev_b32_e32 v26, 23, v1
	v_lshlrev_b32_e32 v1, 3, v1
	v_cmp_gt_i32_e64 s14, 0, v26
	v_not_b32_e32 v26, v26
	s_delay_alu instid0(VALU_DEP_1) | instskip(SKIP_1) | instid1(VALU_DEP_1)
	v_ashrrev_i32_e32 v154, 31, v26
	v_and_b32_e32 v26, 1, v3
	v_add_co_u32 v155, s35, v26, -1
	v_lshlrev_b32_e32 v26, 30, v3
	s_delay_alu instid0(VALU_DEP_1) | instskip(SKIP_1) | instid1(VALU_DEP_1)
	v_cmp_gt_i32_e64 s15, 0, v26
	v_not_b32_e32 v26, v26
	v_ashrrev_i32_e32 v156, 31, v26
	v_lshlrev_b32_e32 v26, 29, v3
	s_delay_alu instid0(VALU_DEP_1) | instskip(SKIP_1) | instid1(VALU_DEP_1)
	v_cmp_gt_i32_e64 s16, 0, v26
	v_not_b32_e32 v26, v26
	v_ashrrev_i32_e32 v157, 31, v26
	;; [unrolled: 5-line block ×7, first 2 shown]
	v_lshlrev_b32_e32 v26, 23, v3
	v_lshlrev_b32_e32 v3, 3, v3
	s_delay_alu instid0(VALU_DEP_2) | instskip(SKIP_1) | instid1(VALU_DEP_1)
	v_cmp_gt_i32_e64 s22, 0, v26
	v_not_b32_e32 v26, v26
	v_ashrrev_i32_e32 v163, 31, v26
	s_branch .LBB29_2
.LBB29_1:                               ;   in Loop: Header=BB29_2 Depth=1
	s_or_b32 exec_lo, exec_lo, s23
	s_add_i32 s36, s36, -1
	s_waitcnt lgkmcnt(0)
	s_cmp_lg_u32 s36, 0
	s_barrier
	buffer_gl0_inv
	s_cbranch_scc0 .LBB29_36
.LBB29_2:                               ; =>This Inner Loop Header: Depth=1
	s_mov_b32 s23, exec_lo
	v_readlane_b32 vcc_lo, v168, 4
	s_delay_alu instid0(VALU_DEP_1) | instskip(NEXT) | instid1(SALU_CYCLE_1)
	s_and_b32 vcc_lo, s23, vcc_lo
	s_mov_b32 exec_lo, vcc_lo
	s_cbranch_execz .LBB29_4
; %bb.3:                                ;   in Loop: Header=BB29_2 Depth=1
	v_mov_b32_e32 v26, v25
	ds_store_b64 v0, v[25:26]
.LBB29_4:                               ;   in Loop: Header=BB29_2 Depth=1
	s_or_b32 exec_lo, exec_lo, s23
	v_readlane_b32 s23, v168, 5
	s_waitcnt lgkmcnt(0)
	s_barrier
	buffer_gl0_inv
	v_cndmask_b32_e64 v26, 0, 1, s23
	v_readlane_b32 s23, v168, 6
	s_delay_alu instid0(VALU_DEP_2) | instskip(NEXT) | instid1(VALU_DEP_2)
	v_cmp_ne_u32_e32 vcc_lo, 0, v26
	v_cndmask_b32_e64 v164, 0, 1, s23
	v_readlane_b32 s23, v168, 7
	s_delay_alu instid0(VALU_DEP_1) | instskip(NEXT) | instid1(VALU_DEP_3)
	v_cndmask_b32_e64 v26, 0, 1, s23
	v_cmp_ne_u32_e64 s23, 0, v164
	v_xor_b32_e32 v164, vcc_lo, v2
	v_readlane_b32 vcc_lo, v168, 8
	s_delay_alu instid0(VALU_DEP_2) | instskip(NEXT) | instid1(VALU_DEP_2)
	v_and_b32_e32 v164, exec_lo, v164
	v_cndmask_b32_e64 v165, 0, 1, vcc_lo
	v_cmp_ne_u32_e32 vcc_lo, 0, v26
	v_xor_b32_e32 v26, s23, v5
	v_readlane_b32 s23, v168, 9
	s_delay_alu instid0(VALU_DEP_2) | instskip(NEXT) | instid1(VALU_DEP_2)
	v_and_b32_e32 v26, v164, v26
	v_cndmask_b32_e64 v166, 0, 1, s23
	v_cmp_ne_u32_e64 s23, 0, v165
	v_xor_b32_e32 v165, vcc_lo, v8
	v_readlane_b32 vcc_lo, v168, 10
	s_delay_alu instid0(VALU_DEP_2) | instskip(NEXT) | instid1(VALU_DEP_2)
	v_and_b32_e32 v26, v26, v165
	v_cndmask_b32_e64 v164, 0, 1, vcc_lo
	v_cmp_ne_u32_e32 vcc_lo, 0, v166
	v_xor_b32_e32 v166, s23, v11
	v_readlane_b32 s23, v168, 11
	s_delay_alu instid0(VALU_DEP_2) | instskip(NEXT) | instid1(VALU_DEP_2)
	v_and_b32_e32 v26, v26, v166
	v_cndmask_b32_e64 v165, 0, 1, s23
	v_cmp_ne_u32_e64 s23, 0, v164
	v_xor_b32_e32 v164, vcc_lo, v13
	v_readlane_b32 vcc_lo, v168, 12
	s_delay_alu instid0(VALU_DEP_2) | instskip(NEXT) | instid1(VALU_DEP_2)
	v_and_b32_e32 v26, v26, v164
	v_cndmask_b32_e64 v166, 0, 1, vcc_lo
	v_cmp_ne_u32_e32 vcc_lo, 0, v165
	v_xor_b32_e32 v165, s23, v15
	s_delay_alu instid0(VALU_DEP_3) | instskip(SKIP_2) | instid1(VALU_DEP_4)
	v_cmp_ne_u32_e64 s23, 0, v166
	v_xor_b32_e32 v164, vcc_lo, v18
	v_readlane_b32 vcc_lo, v168, 13
	v_and_b32_e32 v26, v26, v165
	s_delay_alu instid0(VALU_DEP_4) | instskip(SKIP_1) | instid1(VALU_DEP_3)
	v_xor_b32_e32 v166, s23, v21
	s_mov_b32 s23, exec_lo
	v_cndmask_b32_e64 v165, 0, 1, vcc_lo
	s_delay_alu instid0(VALU_DEP_3) | instskip(NEXT) | instid1(VALU_DEP_2)
	v_and_b32_e32 v26, v26, v164
	v_cmp_ne_u32_e32 vcc_lo, 0, v165
	s_delay_alu instid0(VALU_DEP_2) | instskip(SKIP_1) | instid1(VALU_DEP_1)
	v_and_b32_e32 v26, v26, v166
	v_xor_b32_e32 v164, vcc_lo, v23
	v_and_b32_e32 v26, v26, v164
	s_delay_alu instid0(VALU_DEP_1) | instskip(NEXT) | instid1(VALU_DEP_1)
	v_mbcnt_lo_u32_b32 v164, v26, 0
	v_cmpx_eq_u32_e32 0, v164
	s_cbranch_execz .LBB29_6
; %bb.5:                                ;   in Loop: Header=BB29_2 Depth=1
	v_bcnt_u32_b32 v164, v26, 0
	v_mov_b32_e32 v165, v25
	ds_add_u64 v27, v[164:165]
.LBB29_6:                               ;   in Loop: Header=BB29_2 Depth=1
	s_or_b32 exec_lo, exec_lo, s23
	v_readlane_b32 s23, v168, 14
	s_delay_alu instid0(VALU_DEP_1) | instskip(SKIP_1) | instid1(VALU_DEP_2)
	v_cndmask_b32_e64 v26, 0, 1, s23
	v_readlane_b32 s23, v168, 15
	v_cmp_ne_u32_e32 vcc_lo, 0, v26
	s_delay_alu instid0(VALU_DEP_2) | instskip(SKIP_1) | instid1(VALU_DEP_1)
	v_cndmask_b32_e64 v164, 0, 1, s23
	v_readlane_b32 s23, v168, 16
	v_cndmask_b32_e64 v26, 0, 1, s23
	s_delay_alu instid0(VALU_DEP_3) | instskip(SKIP_2) | instid1(VALU_DEP_2)
	v_cmp_ne_u32_e64 s23, 0, v164
	v_xor_b32_e32 v164, vcc_lo, v28
	v_readlane_b32 vcc_lo, v168, 17
	v_and_b32_e32 v164, exec_lo, v164
	s_delay_alu instid0(VALU_DEP_2) | instskip(SKIP_3) | instid1(VALU_DEP_2)
	v_cndmask_b32_e64 v165, 0, 1, vcc_lo
	v_cmp_ne_u32_e32 vcc_lo, 0, v26
	v_xor_b32_e32 v26, s23, v29
	v_readlane_b32 s23, v168, 18
	v_and_b32_e32 v26, v164, v26
	s_delay_alu instid0(VALU_DEP_2) | instskip(SKIP_3) | instid1(VALU_DEP_2)
	v_cndmask_b32_e64 v166, 0, 1, s23
	v_cmp_ne_u32_e64 s23, 0, v165
	v_xor_b32_e32 v165, vcc_lo, v30
	v_readlane_b32 vcc_lo, v168, 19
	v_and_b32_e32 v26, v26, v165
	s_delay_alu instid0(VALU_DEP_2) | instskip(SKIP_3) | instid1(VALU_DEP_2)
	v_cndmask_b32_e64 v164, 0, 1, vcc_lo
	v_cmp_ne_u32_e32 vcc_lo, 0, v166
	v_xor_b32_e32 v166, s23, v31
	v_readlane_b32 s23, v168, 20
	v_and_b32_e32 v26, v26, v166
	s_delay_alu instid0(VALU_DEP_2) | instskip(SKIP_3) | instid1(VALU_DEP_2)
	v_cndmask_b32_e64 v165, 0, 1, s23
	v_cmp_ne_u32_e64 s23, 0, v164
	v_xor_b32_e32 v164, vcc_lo, v32
	v_readlane_b32 vcc_lo, v168, 21
	v_and_b32_e32 v26, v26, v164
	s_delay_alu instid0(VALU_DEP_2) | instskip(SKIP_2) | instid1(VALU_DEP_3)
	v_cndmask_b32_e64 v166, 0, 1, vcc_lo
	v_cmp_ne_u32_e32 vcc_lo, 0, v165
	v_xor_b32_e32 v165, s23, v33
	v_cmp_ne_u32_e64 s23, 0, v166
	v_xor_b32_e32 v164, vcc_lo, v34
	v_readlane_b32 vcc_lo, v168, 22
	s_delay_alu instid0(VALU_DEP_4) | instskip(NEXT) | instid1(VALU_DEP_4)
	v_and_b32_e32 v26, v26, v165
	v_xor_b32_e32 v166, s23, v35
	s_mov_b32 s23, exec_lo
	s_delay_alu instid0(VALU_DEP_3) | instskip(NEXT) | instid1(VALU_DEP_3)
	v_cndmask_b32_e64 v165, 0, 1, vcc_lo
	v_and_b32_e32 v26, v26, v164
	s_delay_alu instid0(VALU_DEP_2) | instskip(NEXT) | instid1(VALU_DEP_2)
	v_cmp_ne_u32_e32 vcc_lo, 0, v165
	v_and_b32_e32 v26, v26, v166
	v_xor_b32_e32 v164, vcc_lo, v36
	s_delay_alu instid0(VALU_DEP_1) | instskip(NEXT) | instid1(VALU_DEP_1)
	v_and_b32_e32 v26, v26, v164
	v_mbcnt_lo_u32_b32 v164, v26, 0
	s_delay_alu instid0(VALU_DEP_1)
	v_cmpx_eq_u32_e32 0, v164
	s_cbranch_execz .LBB29_8
; %bb.7:                                ;   in Loop: Header=BB29_2 Depth=1
	v_bcnt_u32_b32 v164, v26, 0
	v_mov_b32_e32 v165, v25
	ds_add_u64 v37, v[164:165]
.LBB29_8:                               ;   in Loop: Header=BB29_2 Depth=1
	s_or_b32 exec_lo, exec_lo, s23
	v_readlane_b32 s23, v168, 23
	s_delay_alu instid0(VALU_DEP_1) | instskip(SKIP_1) | instid1(VALU_DEP_2)
	v_cndmask_b32_e64 v26, 0, 1, s23
	v_readlane_b32 s23, v168, 24
	v_cmp_ne_u32_e32 vcc_lo, 0, v26
	s_delay_alu instid0(VALU_DEP_2) | instskip(SKIP_1) | instid1(VALU_DEP_1)
	v_cndmask_b32_e64 v164, 0, 1, s23
	v_readlane_b32 s23, v168, 25
	v_cndmask_b32_e64 v26, 0, 1, s23
	s_delay_alu instid0(VALU_DEP_3) | instskip(SKIP_2) | instid1(VALU_DEP_2)
	v_cmp_ne_u32_e64 s23, 0, v164
	v_xor_b32_e32 v164, vcc_lo, v38
	v_readlane_b32 vcc_lo, v168, 26
	v_and_b32_e32 v164, exec_lo, v164
	s_delay_alu instid0(VALU_DEP_2) | instskip(SKIP_3) | instid1(VALU_DEP_2)
	v_cndmask_b32_e64 v165, 0, 1, vcc_lo
	v_cmp_ne_u32_e32 vcc_lo, 0, v26
	v_xor_b32_e32 v26, s23, v39
	v_readlane_b32 s23, v168, 27
	v_and_b32_e32 v26, v164, v26
	s_delay_alu instid0(VALU_DEP_2) | instskip(SKIP_3) | instid1(VALU_DEP_2)
	v_cndmask_b32_e64 v166, 0, 1, s23
	v_cmp_ne_u32_e64 s23, 0, v165
	v_xor_b32_e32 v165, vcc_lo, v40
	v_readlane_b32 vcc_lo, v168, 28
	v_and_b32_e32 v26, v26, v165
	s_delay_alu instid0(VALU_DEP_2) | instskip(SKIP_3) | instid1(VALU_DEP_2)
	v_cndmask_b32_e64 v164, 0, 1, vcc_lo
	v_cmp_ne_u32_e32 vcc_lo, 0, v166
	v_xor_b32_e32 v166, s23, v41
	v_readlane_b32 s23, v168, 29
	v_and_b32_e32 v26, v26, v166
	s_delay_alu instid0(VALU_DEP_2) | instskip(SKIP_3) | instid1(VALU_DEP_2)
	v_cndmask_b32_e64 v165, 0, 1, s23
	v_cmp_ne_u32_e64 s23, 0, v164
	v_xor_b32_e32 v164, vcc_lo, v42
	v_readlane_b32 vcc_lo, v168, 30
	v_and_b32_e32 v26, v26, v164
	s_delay_alu instid0(VALU_DEP_2) | instskip(SKIP_2) | instid1(VALU_DEP_3)
	v_cndmask_b32_e64 v166, 0, 1, vcc_lo
	v_cmp_ne_u32_e32 vcc_lo, 0, v165
	v_xor_b32_e32 v165, s23, v43
	v_cmp_ne_u32_e64 s23, 0, v166
	v_xor_b32_e32 v164, vcc_lo, v44
	v_readlane_b32 vcc_lo, v168, 31
	s_delay_alu instid0(VALU_DEP_4) | instskip(NEXT) | instid1(VALU_DEP_4)
	v_and_b32_e32 v26, v26, v165
	v_xor_b32_e32 v166, s23, v45
	s_mov_b32 s23, exec_lo
	s_delay_alu instid0(VALU_DEP_3) | instskip(NEXT) | instid1(VALU_DEP_3)
	v_cndmask_b32_e64 v165, 0, 1, vcc_lo
	v_and_b32_e32 v26, v26, v164
	s_delay_alu instid0(VALU_DEP_2) | instskip(NEXT) | instid1(VALU_DEP_2)
	v_cmp_ne_u32_e32 vcc_lo, 0, v165
	v_and_b32_e32 v26, v26, v166
	v_xor_b32_e32 v164, vcc_lo, v46
	s_delay_alu instid0(VALU_DEP_1) | instskip(NEXT) | instid1(VALU_DEP_1)
	v_and_b32_e32 v26, v26, v164
	v_mbcnt_lo_u32_b32 v164, v26, 0
	s_delay_alu instid0(VALU_DEP_1)
	v_cmpx_eq_u32_e32 0, v164
	s_cbranch_execz .LBB29_10
; %bb.9:                                ;   in Loop: Header=BB29_2 Depth=1
	v_bcnt_u32_b32 v164, v26, 0
	v_mov_b32_e32 v165, v25
	ds_add_u64 v20, v[164:165]
.LBB29_10:                              ;   in Loop: Header=BB29_2 Depth=1
	s_or_b32 exec_lo, exec_lo, s23
	v_readlane_b32 s23, v167, 0
	s_delay_alu instid0(VALU_DEP_1) | instskip(SKIP_1) | instid1(VALU_DEP_2)
	v_cndmask_b32_e64 v26, 0, 1, s23
	v_readlane_b32 s23, v167, 1
	v_cmp_ne_u32_e32 vcc_lo, 0, v26
	s_delay_alu instid0(VALU_DEP_2) | instskip(SKIP_1) | instid1(VALU_DEP_1)
	v_cndmask_b32_e64 v164, 0, 1, s23
	v_readlane_b32 s23, v167, 2
	v_cndmask_b32_e64 v26, 0, 1, s23
	s_delay_alu instid0(VALU_DEP_3) | instskip(SKIP_2) | instid1(VALU_DEP_2)
	v_cmp_ne_u32_e64 s23, 0, v164
	v_xor_b32_e32 v164, vcc_lo, v47
	v_readlane_b32 vcc_lo, v167, 3
	v_and_b32_e32 v164, exec_lo, v164
	s_delay_alu instid0(VALU_DEP_2) | instskip(SKIP_3) | instid1(VALU_DEP_2)
	v_cndmask_b32_e64 v165, 0, 1, vcc_lo
	v_cmp_ne_u32_e32 vcc_lo, 0, v26
	v_xor_b32_e32 v26, s23, v48
	v_readlane_b32 s23, v167, 4
	v_and_b32_e32 v26, v164, v26
	s_delay_alu instid0(VALU_DEP_2) | instskip(SKIP_3) | instid1(VALU_DEP_2)
	v_cndmask_b32_e64 v166, 0, 1, s23
	v_cmp_ne_u32_e64 s23, 0, v165
	v_xor_b32_e32 v165, vcc_lo, v49
	v_readlane_b32 vcc_lo, v167, 5
	v_and_b32_e32 v26, v26, v165
	s_delay_alu instid0(VALU_DEP_2) | instskip(SKIP_3) | instid1(VALU_DEP_2)
	v_cndmask_b32_e64 v164, 0, 1, vcc_lo
	v_cmp_ne_u32_e32 vcc_lo, 0, v166
	v_xor_b32_e32 v166, s23, v50
	v_readlane_b32 s23, v167, 6
	v_and_b32_e32 v26, v26, v166
	s_delay_alu instid0(VALU_DEP_2) | instskip(SKIP_3) | instid1(VALU_DEP_2)
	v_cndmask_b32_e64 v165, 0, 1, s23
	v_cmp_ne_u32_e64 s23, 0, v164
	v_xor_b32_e32 v164, vcc_lo, v51
	v_readlane_b32 vcc_lo, v167, 7
	v_and_b32_e32 v26, v26, v164
	s_delay_alu instid0(VALU_DEP_2) | instskip(SKIP_2) | instid1(VALU_DEP_3)
	v_cndmask_b32_e64 v166, 0, 1, vcc_lo
	v_cmp_ne_u32_e32 vcc_lo, 0, v165
	v_xor_b32_e32 v165, s23, v52
	v_cmp_ne_u32_e64 s23, 0, v166
	v_xor_b32_e32 v164, vcc_lo, v53
	v_readlane_b32 vcc_lo, v167, 8
	s_delay_alu instid0(VALU_DEP_4) | instskip(NEXT) | instid1(VALU_DEP_4)
	v_and_b32_e32 v26, v26, v165
	v_xor_b32_e32 v166, s23, v54
	s_mov_b32 s23, exec_lo
	s_delay_alu instid0(VALU_DEP_3) | instskip(NEXT) | instid1(VALU_DEP_3)
	v_cndmask_b32_e64 v165, 0, 1, vcc_lo
	v_and_b32_e32 v26, v26, v164
	s_delay_alu instid0(VALU_DEP_2) | instskip(NEXT) | instid1(VALU_DEP_2)
	v_cmp_ne_u32_e32 vcc_lo, 0, v165
	v_and_b32_e32 v26, v26, v166
	v_xor_b32_e32 v164, vcc_lo, v55
	s_delay_alu instid0(VALU_DEP_1) | instskip(NEXT) | instid1(VALU_DEP_1)
	v_and_b32_e32 v26, v26, v164
	v_mbcnt_lo_u32_b32 v164, v26, 0
	s_delay_alu instid0(VALU_DEP_1)
	v_cmpx_eq_u32_e32 0, v164
	s_cbranch_execz .LBB29_12
; %bb.11:                               ;   in Loop: Header=BB29_2 Depth=1
	v_bcnt_u32_b32 v164, v26, 0
	v_mov_b32_e32 v165, v25
	ds_add_u64 v22, v[164:165]
.LBB29_12:                              ;   in Loop: Header=BB29_2 Depth=1
	s_or_b32 exec_lo, exec_lo, s23
	v_readlane_b32 s23, v167, 9
	s_delay_alu instid0(VALU_DEP_1) | instskip(SKIP_1) | instid1(VALU_DEP_2)
	v_cndmask_b32_e64 v26, 0, 1, s23
	v_readlane_b32 s23, v167, 10
	v_cmp_ne_u32_e32 vcc_lo, 0, v26
	s_delay_alu instid0(VALU_DEP_2) | instskip(SKIP_1) | instid1(VALU_DEP_1)
	v_cndmask_b32_e64 v164, 0, 1, s23
	v_readlane_b32 s23, v167, 11
	v_cndmask_b32_e64 v26, 0, 1, s23
	s_delay_alu instid0(VALU_DEP_3) | instskip(SKIP_2) | instid1(VALU_DEP_2)
	v_cmp_ne_u32_e64 s23, 0, v164
	v_xor_b32_e32 v164, vcc_lo, v56
	v_readlane_b32 vcc_lo, v167, 12
	v_and_b32_e32 v164, exec_lo, v164
	s_delay_alu instid0(VALU_DEP_2) | instskip(SKIP_3) | instid1(VALU_DEP_2)
	v_cndmask_b32_e64 v165, 0, 1, vcc_lo
	v_cmp_ne_u32_e32 vcc_lo, 0, v26
	v_xor_b32_e32 v26, s23, v57
	v_readlane_b32 s23, v167, 13
	v_and_b32_e32 v26, v164, v26
	s_delay_alu instid0(VALU_DEP_2) | instskip(SKIP_3) | instid1(VALU_DEP_4)
	v_cndmask_b32_e64 v166, 0, 1, s23
	v_cmp_ne_u32_e64 s23, 0, v165
	v_xor_b32_e32 v165, vcc_lo, v58
	v_cndmask_b32_e64 v164, 0, 1, s37
	v_cmp_ne_u32_e32 vcc_lo, 0, v166
	s_delay_alu instid0(VALU_DEP_4) | instskip(NEXT) | instid1(VALU_DEP_4)
	v_xor_b32_e32 v166, s23, v59
	v_and_b32_e32 v26, v26, v165
	v_cndmask_b32_e64 v165, 0, 1, s38
	v_cmp_ne_u32_e64 s23, 0, v164
	v_xor_b32_e32 v164, vcc_lo, v60
	s_delay_alu instid0(VALU_DEP_4) | instskip(SKIP_3) | instid1(VALU_DEP_4)
	v_and_b32_e32 v26, v26, v166
	v_cndmask_b32_e64 v166, 0, 1, s39
	v_cmp_ne_u32_e32 vcc_lo, 0, v165
	v_xor_b32_e32 v165, s23, v61
	v_and_b32_e32 v26, v26, v164
	s_delay_alu instid0(VALU_DEP_4) | instskip(SKIP_1) | instid1(VALU_DEP_3)
	v_cmp_ne_u32_e64 s23, 0, v166
	v_xor_b32_e32 v164, vcc_lo, v62
	v_and_b32_e32 v26, v26, v165
	v_cndmask_b32_e64 v165, 0, 1, s40
	s_delay_alu instid0(VALU_DEP_4) | instskip(SKIP_1) | instid1(VALU_DEP_3)
	v_xor_b32_e32 v166, s23, v63
	s_mov_b32 s23, exec_lo
	v_and_b32_e32 v26, v26, v164
	s_delay_alu instid0(VALU_DEP_3) | instskip(NEXT) | instid1(VALU_DEP_2)
	v_cmp_ne_u32_e32 vcc_lo, 0, v165
	v_and_b32_e32 v26, v26, v166
	v_xor_b32_e32 v164, vcc_lo, v64
	s_delay_alu instid0(VALU_DEP_1) | instskip(NEXT) | instid1(VALU_DEP_1)
	v_and_b32_e32 v26, v26, v164
	v_mbcnt_lo_u32_b32 v164, v26, 0
	s_delay_alu instid0(VALU_DEP_1)
	v_cmpx_eq_u32_e32 0, v164
	s_cbranch_execz .LBB29_14
; %bb.13:                               ;   in Loop: Header=BB29_2 Depth=1
	v_bcnt_u32_b32 v164, v26, 0
	v_mov_b32_e32 v165, v25
	ds_add_u64 v17, v[164:165]
.LBB29_14:                              ;   in Loop: Header=BB29_2 Depth=1
	s_or_b32 exec_lo, exec_lo, s23
	v_cndmask_b32_e64 v26, 0, 1, s25
	v_cndmask_b32_e64 v164, 0, 1, s41
	v_cndmask_b32_e64 v165, 0, 1, s43
	v_cndmask_b32_e64 v166, 0, 1, s44
	s_delay_alu instid0(VALU_DEP_4) | instskip(SKIP_3) | instid1(VALU_DEP_3)
	v_cmp_ne_u32_e32 vcc_lo, 0, v26
	v_cndmask_b32_e64 v26, 0, 1, s42
	v_cmp_ne_u32_e64 s23, 0, v164
	v_xor_b32_e32 v164, vcc_lo, v65
	v_cmp_ne_u32_e32 vcc_lo, 0, v26
	s_delay_alu instid0(VALU_DEP_3) | instskip(SKIP_1) | instid1(VALU_DEP_4)
	v_xor_b32_e32 v26, s23, v66
	v_cmp_ne_u32_e64 s23, 0, v165
	v_and_b32_e32 v164, exec_lo, v164
	v_xor_b32_e32 v165, vcc_lo, v67
	v_cmp_ne_u32_e32 vcc_lo, 0, v166
	s_delay_alu instid0(VALU_DEP_4) | instskip(NEXT) | instid1(VALU_DEP_4)
	v_xor_b32_e32 v166, s23, v68
	v_and_b32_e32 v26, v164, v26
	v_cndmask_b32_e64 v164, 0, 1, s45
	s_delay_alu instid0(VALU_DEP_2) | instskip(SKIP_1) | instid1(VALU_DEP_3)
	v_and_b32_e32 v26, v26, v165
	v_cndmask_b32_e64 v165, 0, 1, s46
	v_cmp_ne_u32_e64 s23, 0, v164
	v_xor_b32_e32 v164, vcc_lo, v69
	s_delay_alu instid0(VALU_DEP_4) | instskip(SKIP_3) | instid1(VALU_DEP_4)
	v_and_b32_e32 v26, v26, v166
	v_cndmask_b32_e64 v166, 0, 1, s47
	v_cmp_ne_u32_e32 vcc_lo, 0, v165
	v_xor_b32_e32 v165, s23, v70
	v_and_b32_e32 v26, v26, v164
	s_delay_alu instid0(VALU_DEP_4) | instskip(SKIP_1) | instid1(VALU_DEP_3)
	v_cmp_ne_u32_e64 s23, 0, v166
	v_xor_b32_e32 v164, vcc_lo, v71
	v_and_b32_e32 v26, v26, v165
	v_cndmask_b32_e64 v165, 0, 1, s48
	s_delay_alu instid0(VALU_DEP_4) | instskip(SKIP_1) | instid1(VALU_DEP_3)
	v_xor_b32_e32 v166, s23, v72
	s_mov_b32 s23, exec_lo
	v_and_b32_e32 v26, v26, v164
	s_delay_alu instid0(VALU_DEP_3) | instskip(NEXT) | instid1(VALU_DEP_2)
	v_cmp_ne_u32_e32 vcc_lo, 0, v165
	v_and_b32_e32 v26, v26, v166
	v_xor_b32_e32 v164, vcc_lo, v73
	s_delay_alu instid0(VALU_DEP_1) | instskip(NEXT) | instid1(VALU_DEP_1)
	v_and_b32_e32 v26, v26, v164
	v_mbcnt_lo_u32_b32 v164, v26, 0
	s_delay_alu instid0(VALU_DEP_1)
	v_cmpx_eq_u32_e32 0, v164
	s_cbranch_execz .LBB29_16
; %bb.15:                               ;   in Loop: Header=BB29_2 Depth=1
	v_bcnt_u32_b32 v164, v26, 0
	v_mov_b32_e32 v165, v25
	ds_add_u64 v19, v[164:165]
.LBB29_16:                              ;   in Loop: Header=BB29_2 Depth=1
	s_or_b32 exec_lo, exec_lo, s23
	v_cndmask_b32_e64 v26, 0, 1, s26
	v_cndmask_b32_e64 v164, 0, 1, s49
	v_cndmask_b32_e64 v165, 0, 1, s51
	v_cndmask_b32_e64 v166, 0, 1, s52
	s_delay_alu instid0(VALU_DEP_4) | instskip(SKIP_3) | instid1(VALU_DEP_3)
	v_cmp_ne_u32_e32 vcc_lo, 0, v26
	v_cndmask_b32_e64 v26, 0, 1, s50
	v_cmp_ne_u32_e64 s23, 0, v164
	v_xor_b32_e32 v164, vcc_lo, v74
	v_cmp_ne_u32_e32 vcc_lo, 0, v26
	s_delay_alu instid0(VALU_DEP_3) | instskip(SKIP_1) | instid1(VALU_DEP_4)
	v_xor_b32_e32 v26, s23, v75
	v_cmp_ne_u32_e64 s23, 0, v165
	v_and_b32_e32 v164, exec_lo, v164
	v_xor_b32_e32 v165, vcc_lo, v76
	v_cmp_ne_u32_e32 vcc_lo, 0, v166
	s_delay_alu instid0(VALU_DEP_4) | instskip(NEXT) | instid1(VALU_DEP_4)
	v_xor_b32_e32 v166, s23, v77
	v_and_b32_e32 v26, v164, v26
	v_cndmask_b32_e64 v164, 0, 1, s53
	s_delay_alu instid0(VALU_DEP_2) | instskip(SKIP_1) | instid1(VALU_DEP_3)
	;; [unrolled: 56-line block ×8, first 2 shown]
	v_and_b32_e32 v26, v26, v165
	v_cndmask_b32_e64 v165, 0, 1, s102
	v_cmp_ne_u32_e64 s23, 0, v164
	v_xor_b32_e32 v164, vcc_lo, v132
	s_delay_alu instid0(VALU_DEP_4) | instskip(SKIP_3) | instid1(VALU_DEP_4)
	v_and_b32_e32 v26, v26, v166
	v_cndmask_b32_e64 v166, 0, 1, s103
	v_cmp_ne_u32_e32 vcc_lo, 0, v165
	v_xor_b32_e32 v165, s23, v133
	v_and_b32_e32 v26, v26, v164
	s_delay_alu instid0(VALU_DEP_4) | instskip(SKIP_1) | instid1(VALU_DEP_3)
	v_cmp_ne_u32_e64 s23, 0, v166
	v_xor_b32_e32 v164, vcc_lo, v134
	v_and_b32_e32 v26, v26, v165
	v_cndmask_b32_e64 v165, 0, 1, s104
	s_delay_alu instid0(VALU_DEP_4) | instskip(SKIP_1) | instid1(VALU_DEP_3)
	v_xor_b32_e32 v166, s23, v135
	s_mov_b32 s23, exec_lo
	v_and_b32_e32 v26, v26, v164
	s_delay_alu instid0(VALU_DEP_3) | instskip(NEXT) | instid1(VALU_DEP_2)
	v_cmp_ne_u32_e32 vcc_lo, 0, v165
	v_and_b32_e32 v26, v26, v166
	v_xor_b32_e32 v164, vcc_lo, v136
	s_delay_alu instid0(VALU_DEP_1) | instskip(NEXT) | instid1(VALU_DEP_1)
	v_and_b32_e32 v26, v26, v164
	v_mbcnt_lo_u32_b32 v164, v26, 0
	s_delay_alu instid0(VALU_DEP_1)
	v_cmpx_eq_u32_e32 0, v164
	s_cbranch_execz .LBB29_30
; %bb.29:                               ;   in Loop: Header=BB29_2 Depth=1
	v_bcnt_u32_b32 v164, v26, 0
	v_mov_b32_e32 v165, v25
	ds_add_u64 v4, v[164:165]
.LBB29_30:                              ;   in Loop: Header=BB29_2 Depth=1
	s_or_b32 exec_lo, exec_lo, s23
	v_cndmask_b32_e64 v26, 0, 1, s33
	v_cndmask_b32_e64 v164, 0, 1, vcc_hi
	v_cndmask_b32_e64 v165, 0, 1, s2
	v_cndmask_b32_e64 v166, 0, 1, s3
	s_delay_alu instid0(VALU_DEP_4) | instskip(SKIP_3) | instid1(VALU_DEP_3)
	v_cmp_ne_u32_e32 vcc_lo, 0, v26
	v_cndmask_b32_e64 v26, 0, 1, s1
	v_cmp_ne_u32_e64 s23, 0, v164
	v_xor_b32_e32 v164, vcc_lo, v137
	v_cmp_ne_u32_e32 vcc_lo, 0, v26
	s_delay_alu instid0(VALU_DEP_3) | instskip(SKIP_1) | instid1(VALU_DEP_4)
	v_xor_b32_e32 v26, s23, v138
	v_cmp_ne_u32_e64 s23, 0, v165
	v_and_b32_e32 v164, exec_lo, v164
	v_xor_b32_e32 v165, vcc_lo, v139
	v_cmp_ne_u32_e32 vcc_lo, 0, v166
	s_delay_alu instid0(VALU_DEP_4) | instskip(NEXT) | instid1(VALU_DEP_4)
	v_xor_b32_e32 v166, s23, v140
	v_and_b32_e32 v26, v164, v26
	v_cndmask_b32_e64 v164, 0, 1, s4
	s_delay_alu instid0(VALU_DEP_2) | instskip(SKIP_1) | instid1(VALU_DEP_3)
	v_and_b32_e32 v26, v26, v165
	v_cndmask_b32_e64 v165, 0, 1, s5
	v_cmp_ne_u32_e64 s23, 0, v164
	v_xor_b32_e32 v164, vcc_lo, v141
	s_delay_alu instid0(VALU_DEP_4) | instskip(SKIP_3) | instid1(VALU_DEP_4)
	v_and_b32_e32 v26, v26, v166
	v_cndmask_b32_e64 v166, 0, 1, s6
	v_cmp_ne_u32_e32 vcc_lo, 0, v165
	v_xor_b32_e32 v165, s23, v142
	v_and_b32_e32 v26, v26, v164
	s_delay_alu instid0(VALU_DEP_4) | instskip(SKIP_1) | instid1(VALU_DEP_3)
	v_cmp_ne_u32_e64 s23, 0, v166
	v_xor_b32_e32 v164, vcc_lo, v143
	v_and_b32_e32 v26, v26, v165
	v_cndmask_b32_e64 v165, 0, 1, s7
	s_delay_alu instid0(VALU_DEP_4) | instskip(SKIP_1) | instid1(VALU_DEP_3)
	v_xor_b32_e32 v166, s23, v144
	s_mov_b32 s23, exec_lo
	v_and_b32_e32 v26, v26, v164
	s_delay_alu instid0(VALU_DEP_3) | instskip(NEXT) | instid1(VALU_DEP_2)
	v_cmp_ne_u32_e32 vcc_lo, 0, v165
	v_and_b32_e32 v26, v26, v166
	v_xor_b32_e32 v164, vcc_lo, v145
	s_delay_alu instid0(VALU_DEP_1) | instskip(NEXT) | instid1(VALU_DEP_1)
	v_and_b32_e32 v26, v26, v164
	v_mbcnt_lo_u32_b32 v164, v26, 0
	s_delay_alu instid0(VALU_DEP_1)
	v_cmpx_eq_u32_e32 0, v164
	s_cbranch_execz .LBB29_32
; %bb.31:                               ;   in Loop: Header=BB29_2 Depth=1
	v_bcnt_u32_b32 v164, v26, 0
	v_mov_b32_e32 v165, v25
	ds_add_u64 v6, v[164:165]
.LBB29_32:                              ;   in Loop: Header=BB29_2 Depth=1
	s_or_b32 exec_lo, exec_lo, s23
	v_cndmask_b32_e64 v26, 0, 1, s34
	v_cndmask_b32_e64 v164, 0, 1, s0
	;; [unrolled: 1-line block ×4, first 2 shown]
	s_delay_alu instid0(VALU_DEP_4) | instskip(SKIP_3) | instid1(VALU_DEP_3)
	v_cmp_ne_u32_e32 vcc_lo, 0, v26
	v_cndmask_b32_e64 v26, 0, 1, s8
	v_cmp_ne_u32_e64 s23, 0, v164
	v_xor_b32_e32 v164, vcc_lo, v146
	v_cmp_ne_u32_e32 vcc_lo, 0, v26
	s_delay_alu instid0(VALU_DEP_3) | instskip(SKIP_1) | instid1(VALU_DEP_4)
	v_xor_b32_e32 v26, s23, v147
	v_cmp_ne_u32_e64 s23, 0, v165
	v_and_b32_e32 v164, exec_lo, v164
	v_xor_b32_e32 v165, vcc_lo, v148
	v_cmp_ne_u32_e32 vcc_lo, 0, v166
	s_delay_alu instid0(VALU_DEP_4) | instskip(NEXT) | instid1(VALU_DEP_4)
	v_xor_b32_e32 v166, s23, v149
	v_and_b32_e32 v26, v164, v26
	v_cndmask_b32_e64 v164, 0, 1, s11
	s_delay_alu instid0(VALU_DEP_2) | instskip(SKIP_1) | instid1(VALU_DEP_3)
	v_and_b32_e32 v26, v26, v165
	v_cndmask_b32_e64 v165, 0, 1, s12
	v_cmp_ne_u32_e64 s23, 0, v164
	v_xor_b32_e32 v164, vcc_lo, v150
	s_delay_alu instid0(VALU_DEP_4) | instskip(SKIP_3) | instid1(VALU_DEP_4)
	v_and_b32_e32 v26, v26, v166
	v_cndmask_b32_e64 v166, 0, 1, s13
	v_cmp_ne_u32_e32 vcc_lo, 0, v165
	v_xor_b32_e32 v165, s23, v151
	v_and_b32_e32 v26, v26, v164
	s_delay_alu instid0(VALU_DEP_4) | instskip(SKIP_1) | instid1(VALU_DEP_3)
	v_cmp_ne_u32_e64 s23, 0, v166
	v_xor_b32_e32 v164, vcc_lo, v152
	v_and_b32_e32 v26, v26, v165
	v_cndmask_b32_e64 v165, 0, 1, s14
	s_delay_alu instid0(VALU_DEP_4) | instskip(SKIP_1) | instid1(VALU_DEP_3)
	v_xor_b32_e32 v166, s23, v153
	s_mov_b32 s23, exec_lo
	v_and_b32_e32 v26, v26, v164
	s_delay_alu instid0(VALU_DEP_3) | instskip(NEXT) | instid1(VALU_DEP_2)
	v_cmp_ne_u32_e32 vcc_lo, 0, v165
	v_and_b32_e32 v26, v26, v166
	v_xor_b32_e32 v164, vcc_lo, v154
	s_delay_alu instid0(VALU_DEP_1) | instskip(NEXT) | instid1(VALU_DEP_1)
	v_and_b32_e32 v26, v26, v164
	v_mbcnt_lo_u32_b32 v164, v26, 0
	s_delay_alu instid0(VALU_DEP_1)
	v_cmpx_eq_u32_e32 0, v164
	s_cbranch_execz .LBB29_34
; %bb.33:                               ;   in Loop: Header=BB29_2 Depth=1
	v_bcnt_u32_b32 v164, v26, 0
	v_mov_b32_e32 v165, v25
	ds_add_u64 v1, v[164:165]
.LBB29_34:                              ;   in Loop: Header=BB29_2 Depth=1
	s_or_b32 exec_lo, exec_lo, s23
	v_cndmask_b32_e64 v26, 0, 1, s35
	v_cndmask_b32_e64 v164, 0, 1, s15
	;; [unrolled: 1-line block ×4, first 2 shown]
	s_delay_alu instid0(VALU_DEP_4) | instskip(SKIP_3) | instid1(VALU_DEP_3)
	v_cmp_ne_u32_e32 vcc_lo, 0, v26
	v_cndmask_b32_e64 v26, 0, 1, s16
	v_cmp_ne_u32_e64 s23, 0, v164
	v_xor_b32_e32 v164, vcc_lo, v155
	v_cmp_ne_u32_e32 vcc_lo, 0, v26
	s_delay_alu instid0(VALU_DEP_3) | instskip(SKIP_1) | instid1(VALU_DEP_4)
	v_xor_b32_e32 v26, s23, v156
	v_cmp_ne_u32_e64 s23, 0, v165
	v_and_b32_e32 v164, exec_lo, v164
	v_xor_b32_e32 v165, vcc_lo, v157
	v_cmp_ne_u32_e32 vcc_lo, 0, v166
	s_delay_alu instid0(VALU_DEP_4) | instskip(NEXT) | instid1(VALU_DEP_4)
	v_xor_b32_e32 v166, s23, v158
	v_and_b32_e32 v26, v164, v26
	v_cndmask_b32_e64 v164, 0, 1, s19
	s_delay_alu instid0(VALU_DEP_2) | instskip(SKIP_1) | instid1(VALU_DEP_3)
	v_and_b32_e32 v26, v26, v165
	v_cndmask_b32_e64 v165, 0, 1, s20
	v_cmp_ne_u32_e64 s23, 0, v164
	v_xor_b32_e32 v164, vcc_lo, v159
	s_delay_alu instid0(VALU_DEP_4) | instskip(SKIP_3) | instid1(VALU_DEP_4)
	v_and_b32_e32 v26, v26, v166
	v_cndmask_b32_e64 v166, 0, 1, s21
	v_cmp_ne_u32_e32 vcc_lo, 0, v165
	v_xor_b32_e32 v165, s23, v160
	v_and_b32_e32 v26, v26, v164
	s_delay_alu instid0(VALU_DEP_4) | instskip(SKIP_1) | instid1(VALU_DEP_3)
	v_cmp_ne_u32_e64 s23, 0, v166
	v_xor_b32_e32 v164, vcc_lo, v161
	v_and_b32_e32 v26, v26, v165
	v_cndmask_b32_e64 v165, 0, 1, s22
	s_delay_alu instid0(VALU_DEP_4) | instskip(SKIP_1) | instid1(VALU_DEP_3)
	v_xor_b32_e32 v166, s23, v162
	s_mov_b32 s23, exec_lo
	v_and_b32_e32 v26, v26, v164
	s_delay_alu instid0(VALU_DEP_3) | instskip(NEXT) | instid1(VALU_DEP_2)
	v_cmp_ne_u32_e32 vcc_lo, 0, v165
	v_and_b32_e32 v26, v26, v166
	v_xor_b32_e32 v164, vcc_lo, v163
	s_delay_alu instid0(VALU_DEP_1) | instskip(NEXT) | instid1(VALU_DEP_1)
	v_and_b32_e32 v26, v26, v164
	v_mbcnt_lo_u32_b32 v164, v26, 0
	s_delay_alu instid0(VALU_DEP_1)
	v_cmpx_eq_u32_e32 0, v164
	s_cbranch_execz .LBB29_1
; %bb.35:                               ;   in Loop: Header=BB29_2 Depth=1
	v_bcnt_u32_b32 v164, v26, 0
	v_mov_b32_e32 v165, v25
	ds_add_u64 v3, v[164:165]
	s_branch .LBB29_1
.LBB29_36:
	v_readlane_b32 s1, v168, 4
	s_delay_alu instid0(VALU_DEP_1)
	s_and_saveexec_b32 s0, s1
	s_cbranch_execz .LBB29_38
; %bb.37:
	ds_load_b64 v[0:1], v0
	v_mov_b32_e32 v25, 0
	v_readlane_b32 s0, v168, 0
	v_readlane_b32 s2, v168, 2
	v_readlane_b32 s3, v168, 3
	v_readlane_b32 s1, v168, 1
	v_lshlrev_b64 v[2:3], 3, v[24:25]
	s_delay_alu instid0(VALU_DEP_1) | instskip(NEXT) | instid1(VALU_DEP_2)
	v_add_co_u32 v2, vcc_lo, s2, v2
	v_add_co_ci_u32_e32 v3, vcc_lo, s3, v3, vcc_lo
	s_waitcnt lgkmcnt(0)
	global_store_b64 v[2:3], v[0:1], off
.LBB29_38:
	s_nop 0
	s_sendmsg sendmsg(MSG_DEALLOC_VGPRS)
	s_endpgm
	.section	.rodata,"a",@progbits
	.p2align	6, 0x0
	.amdhsa_kernel _Z6kernelI9histogramILN6hipcub23BlockHistogramAlgorithmE0EEyLj320ELj16ELj320ELj100EEvPKT0_PS4_
		.amdhsa_group_segment_fixed_size 2560
		.amdhsa_private_segment_fixed_size 0
		.amdhsa_kernarg_size 16
		.amdhsa_user_sgpr_count 15
		.amdhsa_user_sgpr_dispatch_ptr 0
		.amdhsa_user_sgpr_queue_ptr 0
		.amdhsa_user_sgpr_kernarg_segment_ptr 1
		.amdhsa_user_sgpr_dispatch_id 0
		.amdhsa_user_sgpr_private_segment_size 0
		.amdhsa_wavefront_size32 1
		.amdhsa_uses_dynamic_stack 0
		.amdhsa_enable_private_segment 0
		.amdhsa_system_sgpr_workgroup_id_x 1
		.amdhsa_system_sgpr_workgroup_id_y 0
		.amdhsa_system_sgpr_workgroup_id_z 0
		.amdhsa_system_sgpr_workgroup_info 0
		.amdhsa_system_vgpr_workitem_id 0
		.amdhsa_next_free_vgpr 169
		.amdhsa_next_free_sgpr 105
		.amdhsa_reserve_vcc 1
		.amdhsa_float_round_mode_32 0
		.amdhsa_float_round_mode_16_64 0
		.amdhsa_float_denorm_mode_32 3
		.amdhsa_float_denorm_mode_16_64 3
		.amdhsa_dx10_clamp 1
		.amdhsa_ieee_mode 1
		.amdhsa_fp16_overflow 0
		.amdhsa_workgroup_processor_mode 1
		.amdhsa_memory_ordered 1
		.amdhsa_forward_progress 0
		.amdhsa_shared_vgpr_count 0
		.amdhsa_exception_fp_ieee_invalid_op 0
		.amdhsa_exception_fp_denorm_src 0
		.amdhsa_exception_fp_ieee_div_zero 0
		.amdhsa_exception_fp_ieee_overflow 0
		.amdhsa_exception_fp_ieee_underflow 0
		.amdhsa_exception_fp_ieee_inexact 0
		.amdhsa_exception_int_div_zero 0
	.end_amdhsa_kernel
	.section	.text._Z6kernelI9histogramILN6hipcub23BlockHistogramAlgorithmE0EEyLj320ELj16ELj320ELj100EEvPKT0_PS4_,"axG",@progbits,_Z6kernelI9histogramILN6hipcub23BlockHistogramAlgorithmE0EEyLj320ELj16ELj320ELj100EEvPKT0_PS4_,comdat
.Lfunc_end29:
	.size	_Z6kernelI9histogramILN6hipcub23BlockHistogramAlgorithmE0EEyLj320ELj16ELj320ELj100EEvPKT0_PS4_, .Lfunc_end29-_Z6kernelI9histogramILN6hipcub23BlockHistogramAlgorithmE0EEyLj320ELj16ELj320ELj100EEvPKT0_PS4_
                                        ; -- End function
	.section	.AMDGPU.csdata,"",@progbits
; Kernel info:
; codeLenInByte = 9008
; NumSgprs: 107
; NumVgprs: 169
; ScratchSize: 0
; MemoryBound: 0
; FloatMode: 240
; IeeeMode: 1
; LDSByteSize: 2560 bytes/workgroup (compile time only)
; SGPRBlocks: 13
; VGPRBlocks: 21
; NumSGPRsForWavesPerEU: 107
; NumVGPRsForWavesPerEU: 169
; Occupancy: 8
; WaveLimiterHint : 0
; COMPUTE_PGM_RSRC2:SCRATCH_EN: 0
; COMPUTE_PGM_RSRC2:USER_SGPR: 15
; COMPUTE_PGM_RSRC2:TRAP_HANDLER: 0
; COMPUTE_PGM_RSRC2:TGID_X_EN: 1
; COMPUTE_PGM_RSRC2:TGID_Y_EN: 0
; COMPUTE_PGM_RSRC2:TGID_Z_EN: 0
; COMPUTE_PGM_RSRC2:TIDIG_COMP_CNT: 0
	.section	.text._Z6kernelI9histogramILN6hipcub23BlockHistogramAlgorithmE1EEiLj256ELj1ELj256ELj100EEvPKT0_PS4_,"axG",@progbits,_Z6kernelI9histogramILN6hipcub23BlockHistogramAlgorithmE1EEiLj256ELj1ELj256ELj100EEvPKT0_PS4_,comdat
	.protected	_Z6kernelI9histogramILN6hipcub23BlockHistogramAlgorithmE1EEiLj256ELj1ELj256ELj100EEvPKT0_PS4_ ; -- Begin function _Z6kernelI9histogramILN6hipcub23BlockHistogramAlgorithmE1EEiLj256ELj1ELj256ELj100EEvPKT0_PS4_
	.globl	_Z6kernelI9histogramILN6hipcub23BlockHistogramAlgorithmE1EEiLj256ELj1ELj256ELj100EEvPKT0_PS4_
	.p2align	8
	.type	_Z6kernelI9histogramILN6hipcub23BlockHistogramAlgorithmE1EEiLj256ELj1ELj256ELj100EEvPKT0_PS4_,@function
_Z6kernelI9histogramILN6hipcub23BlockHistogramAlgorithmE1EEiLj256ELj1ELj256ELj100EEvPKT0_PS4_: ; @_Z6kernelI9histogramILN6hipcub23BlockHistogramAlgorithmE1EEiLj256ELj1ELj256ELj100EEvPKT0_PS4_
; %bb.0:
	s_clause 0x1
	s_load_b128 s[16:19], s[0:1], 0x0
	s_load_b32 s13, s[0:1], 0x1c
	v_dual_mov_b32 v9, 0 :: v_dual_and_b32 v10, 0x3ff, v0
	s_lshl_b32 s2, s15, 8
	v_mbcnt_lo_u32_b32 v3, -1, 0
	s_mov_b32 s20, 0
	s_delay_alu instid0(VALU_DEP_2) | instskip(SKIP_1) | instid1(SALU_CYCLE_1)
	v_or_b32_e32 v8, s2, v10
	s_mov_b32 s21, s20
	v_dual_mov_b32 v11, s20 :: v_dual_mov_b32 v12, s21
	v_add_nc_u32_e32 v6, -1, v3
	s_delay_alu instid0(VALU_DEP_3) | instskip(SKIP_4) | instid1(VALU_DEP_4)
	v_lshlrev_b64 v[1:2], 2, v[8:9]
	v_and_b32_e32 v7, 7, v3
	v_dual_mov_b32 v25, 0x100 :: v_dual_and_b32 v4, 15, v3
	v_and_b32_e32 v5, 16, v3
	v_cmp_gt_i32_e64 s8, 0, v6
	v_cmp_eq_u32_e64 s10, 0, v7
	v_cmp_lt_u32_e64 s11, 1, v7
	s_waitcnt lgkmcnt(0)
	v_add_co_u32 v1, vcc_lo, s16, v1
	v_add_co_ci_u32_e32 v2, vcc_lo, s17, v2, vcc_lo
	s_lshr_b32 s14, s13, 16
	v_cmp_lt_u32_e64 s12, 3, v7
	v_lshlrev_b32_e32 v15, 5, v10
	global_load_b32 v2, v[1:2], off
	v_bfe_u32 v1, v0, 10, 10
	v_bfe_u32 v0, v0, 20, 10
	v_cmp_eq_u32_e64 s1, 0, v4
	v_cmp_lt_u32_e64 s2, 1, v4
	v_cmp_lt_u32_e64 s3, 3, v4
	;; [unrolled: 1-line block ×3, first 2 shown]
	v_mad_u32_u24 v7, v0, s14, v1
	v_cmp_eq_u32_e64 s5, 0, v5
	v_and_b32_e32 v4, 0xe0, v10
	v_cndmask_b32_e64 v5, v6, v3, s8
	v_lshrrev_b32_e32 v6, 3, v10
	s_and_b32 s13, s13, 0xffff
	v_mad_i32_i24 v19, 0xffffffe4, v10, v15
	v_mad_u64_u32 v[0:1], null, v7, s13, v[10:11]
	v_or_b32_e32 v21, 31, v4
	v_and_b32_e32 v18, 28, v6
	v_or_b32_e32 v1, v3, v4
	s_mov_b32 s22, s20
	s_mov_b32 s23, s20
	s_delay_alu instid0(SALU_CYCLE_1)
	v_dual_mov_b32 v13, s22 :: v_dual_mov_b32 v14, s23
	v_cmp_eq_u32_e64 s0, 0, v3
	v_cmp_gt_u32_e32 vcc_lo, 0x100, v10
	v_cmp_gt_u32_e64 s6, 8, v10
	v_cmp_lt_u32_e64 s7, 31, v10
	v_cmp_eq_u32_e64 s8, 0, v10
	v_cmp_ne_u32_e64 s9, 0, v10
	v_lshl_add_u32 v16, v10, 2, 0x2020
	v_add_nc_u32_e32 v17, 32, v15
	v_lshlrev_b32_e32 v20, 2, v5
	v_cmp_eq_u32_e64 s13, v21, v10
	v_add_nc_u32_e32 v21, -4, v18
	v_lshlrev_b32_e32 v22, 2, v1
	v_add_nc_u32_e32 v23, -4, v19
	v_lshrrev_b32_e32 v24, 5, v0
	s_movk_i32 s17, 0x64
	s_waitcnt vmcnt(0)
	v_xor_b32_e32 v26, 0x80000000, v2
	s_branch .LBB30_2
.LBB30_1:                               ;   in Loop: Header=BB30_2 Depth=1
	s_or_b32 exec_lo, exec_lo, s14
	s_add_i32 s17, s17, -1
	s_delay_alu instid0(SALU_CYCLE_1)
	s_cmp_eq_u32 s17, 0
	s_cbranch_scc1 .LBB30_45
.LBB30_2:                               ; =>This Inner Loop Header: Depth=1
	s_and_saveexec_b32 s14, vcc_lo
	s_cbranch_execz .LBB30_4
; %bb.3:                                ;   in Loop: Header=BB30_2 Depth=1
	ds_store_b32 v16, v9
.LBB30_4:                               ;   in Loop: Header=BB30_2 Depth=1
	s_or_b32 exec_lo, exec_lo, s14
	v_and_b32_e32 v0, 1, v26
	v_lshlrev_b32_e32 v1, 30, v26
	v_lshlrev_b32_e32 v2, 29, v26
	;; [unrolled: 1-line block ×4, first 2 shown]
	v_add_co_u32 v0, s14, v0, -1
	s_delay_alu instid0(VALU_DEP_1)
	v_cndmask_b32_e64 v3, 0, 1, s14
	v_not_b32_e32 v7, v1
	v_cmp_gt_i32_e64 s15, 0, v1
	v_not_b32_e32 v1, v2
	v_lshlrev_b32_e32 v6, 26, v26
	v_cmp_ne_u32_e64 s14, 0, v3
	v_ashrrev_i32_e32 v7, 31, v7
	v_lshlrev_b32_e32 v3, 25, v26
	v_ashrrev_i32_e32 v1, 31, v1
	v_cmp_gt_i32_e64 s16, 0, v5
	v_xor_b32_e32 v0, s14, v0
	v_cmp_gt_i32_e64 s14, 0, v2
	v_not_b32_e32 v2, v4
	v_xor_b32_e32 v7, s15, v7
	v_cmp_gt_i32_e64 s15, 0, v4
	v_and_b32_e32 v0, exec_lo, v0
	v_xor_b32_e32 v1, s14, v1
	v_ashrrev_i32_e32 v2, 31, v2
	v_not_b32_e32 v4, v5
	v_not_b32_e32 v5, v6
	v_and_b32_e32 v0, v0, v7
	v_cmp_gt_i32_e64 s14, 0, v6
	v_xor_b32_e32 v2, s15, v2
	v_not_b32_e32 v6, v3
	s_waitcnt lgkmcnt(0)
	v_and_b32_e32 v0, v0, v1
	v_ashrrev_i32_e32 v1, 31, v4
	v_ashrrev_i32_e32 v4, 31, v5
	v_lshlrev_b32_e32 v5, 24, v26
	s_barrier
	v_and_b32_e32 v0, v0, v2
	v_xor_b32_e32 v1, s16, v1
	v_xor_b32_e32 v2, s14, v4
	v_cmp_gt_i32_e64 s14, 0, v3
	v_not_b32_e32 v3, v5
	v_ashrrev_i32_e32 v4, 31, v6
	v_and_b32_e32 v0, v0, v1
	v_cmp_gt_i32_e64 s15, 0, v5
	buffer_gl0_inv
	v_ashrrev_i32_e32 v1, 31, v3
	v_xor_b32_e32 v3, s14, v4
	v_and_b32_e32 v0, v0, v2
	ds_store_2addr_b64 v15, v[11:12], v[13:14] offset0:4 offset1:5
	ds_store_2addr_b64 v17, v[11:12], v[13:14] offset0:2 offset1:3
	s_waitcnt lgkmcnt(0)
	v_xor_b32_e32 v1, s15, v1
	s_barrier
	v_and_b32_e32 v0, v0, v3
	buffer_gl0_inv
	; wave barrier
	v_and_b32_e32 v0, v0, v1
	v_and_b32_e32 v1, 0xff, v26
	s_delay_alu instid0(VALU_DEP_2) | instskip(NEXT) | instid1(VALU_DEP_2)
	v_mbcnt_lo_u32_b32 v27, v0, 0
	v_lshl_add_u32 v1, v1, 3, v24
	v_cmp_ne_u32_e64 s15, 0, v0
	s_delay_alu instid0(VALU_DEP_3) | instskip(NEXT) | instid1(VALU_DEP_3)
	v_cmp_eq_u32_e64 s14, 0, v27
	v_lshl_add_u32 v28, v1, 2, 32
	s_delay_alu instid0(VALU_DEP_2) | instskip(NEXT) | instid1(SALU_CYCLE_1)
	s_and_b32 s15, s15, s14
	s_and_saveexec_b32 s14, s15
	s_cbranch_execz .LBB30_6
; %bb.5:                                ;   in Loop: Header=BB30_2 Depth=1
	v_bcnt_u32_b32 v0, v0, 0
	ds_store_b32 v28, v0
.LBB30_6:                               ;   in Loop: Header=BB30_2 Depth=1
	s_or_b32 exec_lo, exec_lo, s14
	; wave barrier
	s_waitcnt lgkmcnt(0)
	s_barrier
	buffer_gl0_inv
	ds_load_2addr_b64 v[4:7], v15 offset0:4 offset1:5
	ds_load_2addr_b64 v[0:3], v17 offset0:2 offset1:3
	s_waitcnt lgkmcnt(1)
	v_add_nc_u32_e32 v29, v5, v4
	s_delay_alu instid0(VALU_DEP_1) | instskip(SKIP_1) | instid1(VALU_DEP_1)
	v_add3_u32 v29, v29, v6, v7
	s_waitcnt lgkmcnt(0)
	v_add3_u32 v29, v29, v0, v1
	s_delay_alu instid0(VALU_DEP_1) | instskip(NEXT) | instid1(VALU_DEP_1)
	v_add3_u32 v3, v29, v2, v3
	v_mov_b32_dpp v29, v3 row_shr:1 row_mask:0xf bank_mask:0xf
	s_delay_alu instid0(VALU_DEP_1) | instskip(NEXT) | instid1(VALU_DEP_1)
	v_cndmask_b32_e64 v29, v29, 0, s1
	v_add_nc_u32_e32 v3, v29, v3
	s_delay_alu instid0(VALU_DEP_1) | instskip(NEXT) | instid1(VALU_DEP_1)
	v_mov_b32_dpp v29, v3 row_shr:2 row_mask:0xf bank_mask:0xf
	v_cndmask_b32_e64 v29, 0, v29, s2
	s_delay_alu instid0(VALU_DEP_1) | instskip(NEXT) | instid1(VALU_DEP_1)
	v_add_nc_u32_e32 v3, v3, v29
	v_mov_b32_dpp v29, v3 row_shr:4 row_mask:0xf bank_mask:0xf
	s_delay_alu instid0(VALU_DEP_1) | instskip(NEXT) | instid1(VALU_DEP_1)
	v_cndmask_b32_e64 v29, 0, v29, s3
	v_add_nc_u32_e32 v3, v3, v29
	s_delay_alu instid0(VALU_DEP_1) | instskip(NEXT) | instid1(VALU_DEP_1)
	v_mov_b32_dpp v29, v3 row_shr:8 row_mask:0xf bank_mask:0xf
	v_cndmask_b32_e64 v29, 0, v29, s4
	s_delay_alu instid0(VALU_DEP_1) | instskip(SKIP_3) | instid1(VALU_DEP_1)
	v_add_nc_u32_e32 v3, v3, v29
	ds_swizzle_b32 v29, v3 offset:swizzle(BROADCAST,32,15)
	s_waitcnt lgkmcnt(0)
	v_cndmask_b32_e64 v29, v29, 0, s5
	v_add_nc_u32_e32 v3, v3, v29
	s_and_saveexec_b32 s14, s13
	s_cbranch_execz .LBB30_8
; %bb.7:                                ;   in Loop: Header=BB30_2 Depth=1
	ds_store_b32 v18, v3
.LBB30_8:                               ;   in Loop: Header=BB30_2 Depth=1
	s_or_b32 exec_lo, exec_lo, s14
	s_waitcnt lgkmcnt(0)
	s_barrier
	buffer_gl0_inv
	s_and_saveexec_b32 s14, s6
	s_cbranch_execz .LBB30_10
; %bb.9:                                ;   in Loop: Header=BB30_2 Depth=1
	ds_load_b32 v29, v19
	s_waitcnt lgkmcnt(0)
	v_mov_b32_dpp v30, v29 row_shr:1 row_mask:0xf bank_mask:0xf
	s_delay_alu instid0(VALU_DEP_1) | instskip(NEXT) | instid1(VALU_DEP_1)
	v_cndmask_b32_e64 v30, v30, 0, s10
	v_add_nc_u32_e32 v29, v30, v29
	s_delay_alu instid0(VALU_DEP_1) | instskip(NEXT) | instid1(VALU_DEP_1)
	v_mov_b32_dpp v30, v29 row_shr:2 row_mask:0xf bank_mask:0xf
	v_cndmask_b32_e64 v30, 0, v30, s11
	s_delay_alu instid0(VALU_DEP_1) | instskip(NEXT) | instid1(VALU_DEP_1)
	v_add_nc_u32_e32 v29, v29, v30
	v_mov_b32_dpp v30, v29 row_shr:4 row_mask:0xf bank_mask:0xf
	s_delay_alu instid0(VALU_DEP_1) | instskip(NEXT) | instid1(VALU_DEP_1)
	v_cndmask_b32_e64 v30, 0, v30, s12
	v_add_nc_u32_e32 v29, v29, v30
	ds_store_b32 v19, v29
.LBB30_10:                              ;   in Loop: Header=BB30_2 Depth=1
	s_or_b32 exec_lo, exec_lo, s14
	v_mov_b32_e32 v29, 0
	s_waitcnt lgkmcnt(0)
	s_barrier
	buffer_gl0_inv
	s_and_saveexec_b32 s14, s7
	s_cbranch_execz .LBB30_12
; %bb.11:                               ;   in Loop: Header=BB30_2 Depth=1
	ds_load_b32 v29, v21
.LBB30_12:                              ;   in Loop: Header=BB30_2 Depth=1
	s_or_b32 exec_lo, exec_lo, s14
	s_waitcnt lgkmcnt(0)
	v_add_nc_u32_e32 v3, v29, v3
	ds_bpermute_b32 v3, v20, v3
	s_waitcnt lgkmcnt(0)
	v_cndmask_b32_e64 v3, v3, v29, s0
	s_delay_alu instid0(VALU_DEP_1) | instskip(NEXT) | instid1(VALU_DEP_1)
	v_cndmask_b32_e64 v3, v3, 0, s8
	v_add_nc_u32_e32 v4, v3, v4
	s_delay_alu instid0(VALU_DEP_1) | instskip(NEXT) | instid1(VALU_DEP_1)
	v_add_nc_u32_e32 v5, v4, v5
	v_add_nc_u32_e32 v6, v5, v6
	s_delay_alu instid0(VALU_DEP_1) | instskip(NEXT) | instid1(VALU_DEP_1)
	v_add_nc_u32_e32 v29, v6, v7
	v_add_nc_u32_e32 v30, v29, v0
	s_delay_alu instid0(VALU_DEP_1) | instskip(NEXT) | instid1(VALU_DEP_1)
	v_add_nc_u32_e32 v0, v30, v1
	v_add_nc_u32_e32 v1, v0, v2
	ds_store_2addr_b64 v15, v[3:4], v[5:6] offset0:4 offset1:5
	ds_store_2addr_b64 v17, v[29:30], v[0:1] offset0:2 offset1:3
	s_waitcnt lgkmcnt(0)
	s_barrier
	buffer_gl0_inv
	ds_load_b32 v0, v28
	v_lshlrev_b32_e32 v1, 2, v27
	s_waitcnt lgkmcnt(0)
	s_barrier
	buffer_gl0_inv
	v_lshl_add_u32 v0, v0, 2, v1
	ds_store_b32 v0, v26
	s_waitcnt lgkmcnt(0)
	s_barrier
	buffer_gl0_inv
	ds_load_b32 v26, v22
	s_waitcnt lgkmcnt(0)
	s_barrier
	buffer_gl0_inv
	ds_store_2addr_b64 v15, v[11:12], v[13:14] offset0:4 offset1:5
	ds_store_2addr_b64 v17, v[11:12], v[13:14] offset0:2 offset1:3
	s_waitcnt lgkmcnt(0)
	s_barrier
	buffer_gl0_inv
	; wave barrier
	v_bfe_u32 v0, v26, 8, 1
	v_lshrrev_b32_e32 v1, 8, v26
	s_delay_alu instid0(VALU_DEP_2) | instskip(NEXT) | instid1(VALU_DEP_1)
	v_add_co_u32 v0, s14, v0, -1
	v_cndmask_b32_e64 v2, 0, 1, s14
	s_delay_alu instid0(VALU_DEP_3)
	v_lshlrev_b32_e32 v3, 30, v1
	v_lshlrev_b32_e32 v4, 29, v1
	;; [unrolled: 1-line block ×4, first 2 shown]
	v_cmp_ne_u32_e64 s14, 0, v2
	v_not_b32_e32 v2, v3
	v_cmp_gt_i32_e64 s15, 0, v3
	v_not_b32_e32 v3, v4
	v_lshlrev_b32_e32 v7, 26, v1
	v_xor_b32_e32 v0, s14, v0
	v_ashrrev_i32_e32 v2, 31, v2
	v_cmp_gt_i32_e64 s14, 0, v4
	v_not_b32_e32 v4, v5
	v_ashrrev_i32_e32 v3, 31, v3
	v_and_b32_e32 v0, exec_lo, v0
	v_xor_b32_e32 v2, s15, v2
	v_cmp_gt_i32_e64 s15, 0, v5
	v_not_b32_e32 v5, v6
	v_ashrrev_i32_e32 v4, 31, v4
	v_xor_b32_e32 v3, s14, v3
	v_and_b32_e32 v0, v0, v2
	v_lshlrev_b32_e32 v27, 25, v1
	v_cmp_gt_i32_e64 s14, 0, v6
	v_not_b32_e32 v2, v7
	v_ashrrev_i32_e32 v5, 31, v5
	v_xor_b32_e32 v4, s15, v4
	v_and_b32_e32 v0, v0, v3
	v_lshlrev_b32_e32 v1, 24, v1
	v_cmp_gt_i32_e64 s15, 0, v7
	v_not_b32_e32 v3, v27
	v_ashrrev_i32_e32 v2, 31, v2
	v_xor_b32_e32 v5, s14, v5
	v_and_b32_e32 v0, v0, v4
	v_cmp_gt_i32_e64 s14, 0, v27
	v_not_b32_e32 v4, v1
	v_ashrrev_i32_e32 v3, 31, v3
	v_xor_b32_e32 v2, s15, v2
	v_and_b32_e32 v0, v0, v5
	v_cmp_gt_i32_e64 s15, 0, v1
	v_ashrrev_i32_e32 v1, 31, v4
	v_xor_b32_e32 v3, s14, v3
	s_delay_alu instid0(VALU_DEP_4) | instskip(SKIP_1) | instid1(VALU_DEP_4)
	v_and_b32_e32 v0, v0, v2
	v_lshrrev_b32_e32 v2, 5, v26
	v_xor_b32_e32 v1, s15, v1
	s_delay_alu instid0(VALU_DEP_3) | instskip(NEXT) | instid1(VALU_DEP_1)
	v_and_b32_e32 v0, v0, v3
	v_and_b32_e32 v0, v0, v1
	s_delay_alu instid0(VALU_DEP_4) | instskip(NEXT) | instid1(VALU_DEP_2)
	v_and_b32_e32 v1, 0x7f8, v2
	v_mbcnt_lo_u32_b32 v27, v0, 0
	s_delay_alu instid0(VALU_DEP_2) | instskip(SKIP_1) | instid1(VALU_DEP_3)
	v_add_nc_u32_e32 v1, v1, v24
	v_cmp_ne_u32_e64 s15, 0, v0
	v_cmp_eq_u32_e64 s14, 0, v27
	s_delay_alu instid0(VALU_DEP_3) | instskip(NEXT) | instid1(VALU_DEP_2)
	v_lshl_add_u32 v28, v1, 2, 32
	s_and_b32 s15, s15, s14
	s_delay_alu instid0(SALU_CYCLE_1)
	s_and_saveexec_b32 s14, s15
	s_cbranch_execz .LBB30_14
; %bb.13:                               ;   in Loop: Header=BB30_2 Depth=1
	v_bcnt_u32_b32 v0, v0, 0
	ds_store_b32 v28, v0
.LBB30_14:                              ;   in Loop: Header=BB30_2 Depth=1
	s_or_b32 exec_lo, exec_lo, s14
	; wave barrier
	s_waitcnt lgkmcnt(0)
	s_barrier
	buffer_gl0_inv
	ds_load_2addr_b64 v[4:7], v15 offset0:4 offset1:5
	ds_load_2addr_b64 v[0:3], v17 offset0:2 offset1:3
	s_waitcnt lgkmcnt(1)
	v_add_nc_u32_e32 v29, v5, v4
	s_delay_alu instid0(VALU_DEP_1) | instskip(SKIP_1) | instid1(VALU_DEP_1)
	v_add3_u32 v29, v29, v6, v7
	s_waitcnt lgkmcnt(0)
	v_add3_u32 v29, v29, v0, v1
	s_delay_alu instid0(VALU_DEP_1) | instskip(NEXT) | instid1(VALU_DEP_1)
	v_add3_u32 v3, v29, v2, v3
	v_mov_b32_dpp v29, v3 row_shr:1 row_mask:0xf bank_mask:0xf
	s_delay_alu instid0(VALU_DEP_1) | instskip(NEXT) | instid1(VALU_DEP_1)
	v_cndmask_b32_e64 v29, v29, 0, s1
	v_add_nc_u32_e32 v3, v29, v3
	s_delay_alu instid0(VALU_DEP_1) | instskip(NEXT) | instid1(VALU_DEP_1)
	v_mov_b32_dpp v29, v3 row_shr:2 row_mask:0xf bank_mask:0xf
	v_cndmask_b32_e64 v29, 0, v29, s2
	s_delay_alu instid0(VALU_DEP_1) | instskip(NEXT) | instid1(VALU_DEP_1)
	v_add_nc_u32_e32 v3, v3, v29
	v_mov_b32_dpp v29, v3 row_shr:4 row_mask:0xf bank_mask:0xf
	s_delay_alu instid0(VALU_DEP_1) | instskip(NEXT) | instid1(VALU_DEP_1)
	v_cndmask_b32_e64 v29, 0, v29, s3
	v_add_nc_u32_e32 v3, v3, v29
	s_delay_alu instid0(VALU_DEP_1) | instskip(NEXT) | instid1(VALU_DEP_1)
	v_mov_b32_dpp v29, v3 row_shr:8 row_mask:0xf bank_mask:0xf
	v_cndmask_b32_e64 v29, 0, v29, s4
	s_delay_alu instid0(VALU_DEP_1) | instskip(SKIP_3) | instid1(VALU_DEP_1)
	v_add_nc_u32_e32 v3, v3, v29
	ds_swizzle_b32 v29, v3 offset:swizzle(BROADCAST,32,15)
	s_waitcnt lgkmcnt(0)
	v_cndmask_b32_e64 v29, v29, 0, s5
	v_add_nc_u32_e32 v3, v3, v29
	s_and_saveexec_b32 s14, s13
	s_cbranch_execz .LBB30_16
; %bb.15:                               ;   in Loop: Header=BB30_2 Depth=1
	ds_store_b32 v18, v3
.LBB30_16:                              ;   in Loop: Header=BB30_2 Depth=1
	s_or_b32 exec_lo, exec_lo, s14
	s_waitcnt lgkmcnt(0)
	s_barrier
	buffer_gl0_inv
	s_and_saveexec_b32 s14, s6
	s_cbranch_execz .LBB30_18
; %bb.17:                               ;   in Loop: Header=BB30_2 Depth=1
	ds_load_b32 v29, v19
	s_waitcnt lgkmcnt(0)
	v_mov_b32_dpp v30, v29 row_shr:1 row_mask:0xf bank_mask:0xf
	s_delay_alu instid0(VALU_DEP_1) | instskip(NEXT) | instid1(VALU_DEP_1)
	v_cndmask_b32_e64 v30, v30, 0, s10
	v_add_nc_u32_e32 v29, v30, v29
	s_delay_alu instid0(VALU_DEP_1) | instskip(NEXT) | instid1(VALU_DEP_1)
	v_mov_b32_dpp v30, v29 row_shr:2 row_mask:0xf bank_mask:0xf
	v_cndmask_b32_e64 v30, 0, v30, s11
	s_delay_alu instid0(VALU_DEP_1) | instskip(NEXT) | instid1(VALU_DEP_1)
	v_add_nc_u32_e32 v29, v29, v30
	v_mov_b32_dpp v30, v29 row_shr:4 row_mask:0xf bank_mask:0xf
	s_delay_alu instid0(VALU_DEP_1) | instskip(NEXT) | instid1(VALU_DEP_1)
	v_cndmask_b32_e64 v30, 0, v30, s12
	v_add_nc_u32_e32 v29, v29, v30
	ds_store_b32 v19, v29
.LBB30_18:                              ;   in Loop: Header=BB30_2 Depth=1
	s_or_b32 exec_lo, exec_lo, s14
	v_mov_b32_e32 v29, 0
	s_waitcnt lgkmcnt(0)
	s_barrier
	buffer_gl0_inv
	s_and_saveexec_b32 s14, s7
	s_cbranch_execz .LBB30_20
; %bb.19:                               ;   in Loop: Header=BB30_2 Depth=1
	ds_load_b32 v29, v21
.LBB30_20:                              ;   in Loop: Header=BB30_2 Depth=1
	s_or_b32 exec_lo, exec_lo, s14
	s_waitcnt lgkmcnt(0)
	v_add_nc_u32_e32 v3, v29, v3
	ds_bpermute_b32 v3, v20, v3
	s_waitcnt lgkmcnt(0)
	v_cndmask_b32_e64 v3, v3, v29, s0
	s_delay_alu instid0(VALU_DEP_1) | instskip(NEXT) | instid1(VALU_DEP_1)
	v_cndmask_b32_e64 v3, v3, 0, s8
	v_add_nc_u32_e32 v4, v3, v4
	s_delay_alu instid0(VALU_DEP_1) | instskip(NEXT) | instid1(VALU_DEP_1)
	v_add_nc_u32_e32 v5, v4, v5
	v_add_nc_u32_e32 v6, v5, v6
	s_delay_alu instid0(VALU_DEP_1) | instskip(NEXT) | instid1(VALU_DEP_1)
	v_add_nc_u32_e32 v29, v6, v7
	;; [unrolled: 3-line block ×3, first 2 shown]
	v_add_nc_u32_e32 v1, v0, v2
	ds_store_2addr_b64 v15, v[3:4], v[5:6] offset0:4 offset1:5
	ds_store_2addr_b64 v17, v[29:30], v[0:1] offset0:2 offset1:3
	s_waitcnt lgkmcnt(0)
	s_barrier
	buffer_gl0_inv
	ds_load_b32 v0, v28
	v_lshlrev_b32_e32 v1, 2, v27
	s_waitcnt lgkmcnt(0)
	s_barrier
	buffer_gl0_inv
	v_lshl_add_u32 v0, v0, 2, v1
	ds_store_b32 v0, v26
	s_waitcnt lgkmcnt(0)
	s_barrier
	buffer_gl0_inv
	ds_load_b32 v26, v22
	s_waitcnt lgkmcnt(0)
	s_barrier
	buffer_gl0_inv
	v_bfe_u32 v0, v26, 16, 1
	v_lshrrev_b32_e32 v1, 16, v26
	s_delay_alu instid0(VALU_DEP_2) | instskip(NEXT) | instid1(VALU_DEP_1)
	v_add_co_u32 v0, s14, v0, -1
	v_cndmask_b32_e64 v2, 0, 1, s14
	s_delay_alu instid0(VALU_DEP_3)
	v_lshlrev_b32_e32 v3, 30, v1
	v_lshlrev_b32_e32 v4, 29, v1
	;; [unrolled: 1-line block ×4, first 2 shown]
	v_cmp_ne_u32_e64 s14, 0, v2
	v_not_b32_e32 v2, v3
	v_cmp_gt_i32_e64 s15, 0, v3
	v_not_b32_e32 v3, v4
	v_lshlrev_b32_e32 v7, 26, v1
	v_xor_b32_e32 v0, s14, v0
	v_ashrrev_i32_e32 v2, 31, v2
	v_cmp_gt_i32_e64 s14, 0, v4
	v_not_b32_e32 v4, v5
	v_ashrrev_i32_e32 v3, 31, v3
	v_and_b32_e32 v0, exec_lo, v0
	v_xor_b32_e32 v2, s15, v2
	v_cmp_gt_i32_e64 s15, 0, v5
	v_not_b32_e32 v5, v6
	v_ashrrev_i32_e32 v4, 31, v4
	v_xor_b32_e32 v3, s14, v3
	v_and_b32_e32 v0, v0, v2
	v_lshlrev_b32_e32 v27, 25, v1
	v_cmp_gt_i32_e64 s14, 0, v6
	v_not_b32_e32 v2, v7
	v_ashrrev_i32_e32 v5, 31, v5
	v_xor_b32_e32 v4, s15, v4
	v_and_b32_e32 v0, v0, v3
	v_lshlrev_b32_e32 v1, 24, v1
	v_cmp_gt_i32_e64 s15, 0, v7
	v_not_b32_e32 v3, v27
	v_ashrrev_i32_e32 v2, 31, v2
	v_xor_b32_e32 v5, s14, v5
	v_and_b32_e32 v0, v0, v4
	v_cmp_gt_i32_e64 s14, 0, v27
	v_not_b32_e32 v4, v1
	v_ashrrev_i32_e32 v3, 31, v3
	v_xor_b32_e32 v2, s15, v2
	v_and_b32_e32 v0, v0, v5
	v_cmp_gt_i32_e64 s15, 0, v1
	v_ashrrev_i32_e32 v1, 31, v4
	v_xor_b32_e32 v3, s14, v3
	v_lshrrev_b32_e32 v6, 13, v26
	v_and_b32_e32 v0, v0, v2
	s_delay_alu instid0(VALU_DEP_4) | instskip(SKIP_1) | instid1(VALU_DEP_3)
	v_xor_b32_e32 v5, s15, v1
	v_dual_mov_b32 v1, s20 :: v_dual_mov_b32 v2, s21
	v_dual_mov_b32 v3, s22 :: v_dual_and_b32 v0, v0, v3
	v_mov_b32_e32 v4, s23
	ds_store_2addr_b64 v15, v[1:2], v[3:4] offset0:4 offset1:5
	ds_store_2addr_b64 v17, v[1:2], v[3:4] offset0:2 offset1:3
	v_and_b32_e32 v0, v0, v5
	v_and_b32_e32 v5, 0x7f8, v6
	s_waitcnt lgkmcnt(0)
	s_barrier
	buffer_gl0_inv
	v_mbcnt_lo_u32_b32 v27, v0, 0
	v_add_nc_u32_e32 v1, v5, v24
	v_cmp_ne_u32_e64 s15, 0, v0
	; wave barrier
	s_delay_alu instid0(VALU_DEP_3) | instskip(NEXT) | instid1(VALU_DEP_3)
	v_cmp_eq_u32_e64 s14, 0, v27
	v_lshl_add_u32 v28, v1, 2, 32
	s_delay_alu instid0(VALU_DEP_2) | instskip(NEXT) | instid1(SALU_CYCLE_1)
	s_and_b32 s15, s15, s14
	s_and_saveexec_b32 s14, s15
	s_cbranch_execz .LBB30_22
; %bb.21:                               ;   in Loop: Header=BB30_2 Depth=1
	v_bcnt_u32_b32 v0, v0, 0
	ds_store_b32 v28, v0
.LBB30_22:                              ;   in Loop: Header=BB30_2 Depth=1
	s_or_b32 exec_lo, exec_lo, s14
	; wave barrier
	s_waitcnt lgkmcnt(0)
	s_barrier
	buffer_gl0_inv
	ds_load_2addr_b64 v[4:7], v15 offset0:4 offset1:5
	ds_load_2addr_b64 v[0:3], v17 offset0:2 offset1:3
	s_waitcnt lgkmcnt(1)
	v_add_nc_u32_e32 v29, v5, v4
	s_delay_alu instid0(VALU_DEP_1) | instskip(SKIP_1) | instid1(VALU_DEP_1)
	v_add3_u32 v29, v29, v6, v7
	s_waitcnt lgkmcnt(0)
	v_add3_u32 v29, v29, v0, v1
	s_delay_alu instid0(VALU_DEP_1) | instskip(NEXT) | instid1(VALU_DEP_1)
	v_add3_u32 v3, v29, v2, v3
	v_mov_b32_dpp v29, v3 row_shr:1 row_mask:0xf bank_mask:0xf
	s_delay_alu instid0(VALU_DEP_1) | instskip(NEXT) | instid1(VALU_DEP_1)
	v_cndmask_b32_e64 v29, v29, 0, s1
	v_add_nc_u32_e32 v3, v29, v3
	s_delay_alu instid0(VALU_DEP_1) | instskip(NEXT) | instid1(VALU_DEP_1)
	v_mov_b32_dpp v29, v3 row_shr:2 row_mask:0xf bank_mask:0xf
	v_cndmask_b32_e64 v29, 0, v29, s2
	s_delay_alu instid0(VALU_DEP_1) | instskip(NEXT) | instid1(VALU_DEP_1)
	v_add_nc_u32_e32 v3, v3, v29
	v_mov_b32_dpp v29, v3 row_shr:4 row_mask:0xf bank_mask:0xf
	s_delay_alu instid0(VALU_DEP_1) | instskip(NEXT) | instid1(VALU_DEP_1)
	v_cndmask_b32_e64 v29, 0, v29, s3
	v_add_nc_u32_e32 v3, v3, v29
	s_delay_alu instid0(VALU_DEP_1) | instskip(NEXT) | instid1(VALU_DEP_1)
	v_mov_b32_dpp v29, v3 row_shr:8 row_mask:0xf bank_mask:0xf
	v_cndmask_b32_e64 v29, 0, v29, s4
	s_delay_alu instid0(VALU_DEP_1) | instskip(SKIP_3) | instid1(VALU_DEP_1)
	v_add_nc_u32_e32 v3, v3, v29
	ds_swizzle_b32 v29, v3 offset:swizzle(BROADCAST,32,15)
	s_waitcnt lgkmcnt(0)
	v_cndmask_b32_e64 v29, v29, 0, s5
	v_add_nc_u32_e32 v3, v3, v29
	s_and_saveexec_b32 s14, s13
	s_cbranch_execz .LBB30_24
; %bb.23:                               ;   in Loop: Header=BB30_2 Depth=1
	ds_store_b32 v18, v3
.LBB30_24:                              ;   in Loop: Header=BB30_2 Depth=1
	s_or_b32 exec_lo, exec_lo, s14
	s_waitcnt lgkmcnt(0)
	s_barrier
	buffer_gl0_inv
	s_and_saveexec_b32 s14, s6
	s_cbranch_execz .LBB30_26
; %bb.25:                               ;   in Loop: Header=BB30_2 Depth=1
	ds_load_b32 v29, v19
	s_waitcnt lgkmcnt(0)
	v_mov_b32_dpp v30, v29 row_shr:1 row_mask:0xf bank_mask:0xf
	s_delay_alu instid0(VALU_DEP_1) | instskip(NEXT) | instid1(VALU_DEP_1)
	v_cndmask_b32_e64 v30, v30, 0, s10
	v_add_nc_u32_e32 v29, v30, v29
	s_delay_alu instid0(VALU_DEP_1) | instskip(NEXT) | instid1(VALU_DEP_1)
	v_mov_b32_dpp v30, v29 row_shr:2 row_mask:0xf bank_mask:0xf
	v_cndmask_b32_e64 v30, 0, v30, s11
	s_delay_alu instid0(VALU_DEP_1) | instskip(NEXT) | instid1(VALU_DEP_1)
	v_add_nc_u32_e32 v29, v29, v30
	v_mov_b32_dpp v30, v29 row_shr:4 row_mask:0xf bank_mask:0xf
	s_delay_alu instid0(VALU_DEP_1) | instskip(NEXT) | instid1(VALU_DEP_1)
	v_cndmask_b32_e64 v30, 0, v30, s12
	v_add_nc_u32_e32 v29, v29, v30
	ds_store_b32 v19, v29
.LBB30_26:                              ;   in Loop: Header=BB30_2 Depth=1
	s_or_b32 exec_lo, exec_lo, s14
	v_mov_b32_e32 v29, 0
	s_waitcnt lgkmcnt(0)
	s_barrier
	buffer_gl0_inv
	s_and_saveexec_b32 s14, s7
	s_cbranch_execz .LBB30_28
; %bb.27:                               ;   in Loop: Header=BB30_2 Depth=1
	ds_load_b32 v29, v21
.LBB30_28:                              ;   in Loop: Header=BB30_2 Depth=1
	s_or_b32 exec_lo, exec_lo, s14
	s_waitcnt lgkmcnt(0)
	v_add_nc_u32_e32 v3, v29, v3
	ds_bpermute_b32 v3, v20, v3
	s_waitcnt lgkmcnt(0)
	v_cndmask_b32_e64 v3, v3, v29, s0
	s_delay_alu instid0(VALU_DEP_1) | instskip(NEXT) | instid1(VALU_DEP_1)
	v_cndmask_b32_e64 v3, v3, 0, s8
	v_add_nc_u32_e32 v4, v3, v4
	s_delay_alu instid0(VALU_DEP_1) | instskip(NEXT) | instid1(VALU_DEP_1)
	v_add_nc_u32_e32 v5, v4, v5
	v_add_nc_u32_e32 v6, v5, v6
	s_delay_alu instid0(VALU_DEP_1) | instskip(NEXT) | instid1(VALU_DEP_1)
	v_add_nc_u32_e32 v29, v6, v7
	;; [unrolled: 3-line block ×3, first 2 shown]
	v_add_nc_u32_e32 v1, v0, v2
	ds_store_2addr_b64 v15, v[3:4], v[5:6] offset0:4 offset1:5
	ds_store_2addr_b64 v17, v[29:30], v[0:1] offset0:2 offset1:3
	s_waitcnt lgkmcnt(0)
	s_barrier
	buffer_gl0_inv
	ds_load_b32 v0, v28
	v_lshlrev_b32_e32 v1, 2, v27
	s_waitcnt lgkmcnt(0)
	s_barrier
	buffer_gl0_inv
	v_lshl_add_u32 v0, v0, 2, v1
	ds_store_b32 v0, v26
	s_waitcnt lgkmcnt(0)
	s_barrier
	buffer_gl0_inv
	ds_load_b32 v26, v22
	s_waitcnt lgkmcnt(0)
	s_barrier
	buffer_gl0_inv
	v_bfe_u32 v0, v26, 24, 1
	v_lshrrev_b32_e32 v5, 24, v26
	s_delay_alu instid0(VALU_DEP_2) | instskip(NEXT) | instid1(VALU_DEP_1)
	v_add_co_u32 v0, s14, v0, -1
	v_cndmask_b32_e64 v1, 0, 1, s14
	s_delay_alu instid0(VALU_DEP_3)
	v_lshlrev_b32_e32 v2, 30, v5
	v_lshlrev_b32_e32 v3, 29, v5
	;; [unrolled: 1-line block ×4, first 2 shown]
	v_cmp_ne_u32_e64 s14, 0, v1
	v_not_b32_e32 v1, v2
	v_cmp_gt_i32_e64 s15, 0, v2
	v_not_b32_e32 v2, v3
	v_lshlrev_b32_e32 v7, 26, v5
	v_xor_b32_e32 v0, s14, v0
	v_ashrrev_i32_e32 v1, 31, v1
	v_cmp_gt_i32_e64 s14, 0, v3
	v_not_b32_e32 v3, v4
	v_ashrrev_i32_e32 v2, 31, v2
	v_and_b32_e32 v0, exec_lo, v0
	v_xor_b32_e32 v1, s15, v1
	v_cmp_gt_i32_e64 s15, 0, v4
	v_not_b32_e32 v4, v6
	v_ashrrev_i32_e32 v3, 31, v3
	v_xor_b32_e32 v2, s14, v2
	v_and_b32_e32 v0, v0, v1
	v_lshlrev_b32_e32 v27, 25, v5
	v_cmp_gt_i32_e64 s14, 0, v6
	v_not_b32_e32 v1, v7
	v_ashrrev_i32_e32 v4, 31, v4
	v_xor_b32_e32 v3, s15, v3
	v_and_b32_e32 v0, v0, v2
	v_cmp_gt_i32_e64 s15, 0, v7
	v_not_b32_e32 v2, v27
	v_ashrrev_i32_e32 v1, 31, v1
	v_xor_b32_e32 v4, s14, v4
	v_and_b32_e32 v0, v0, v3
	v_not_b32_e32 v3, v26
	v_cmp_gt_i32_e64 s14, 0, v27
	v_ashrrev_i32_e32 v2, 31, v2
	v_xor_b32_e32 v1, s15, v1
	v_and_b32_e32 v0, v0, v4
	v_cmp_gt_i32_e64 s15, 0, v26
	v_ashrrev_i32_e32 v3, 31, v3
	v_xor_b32_e32 v2, s14, v2
	s_delay_alu instid0(VALU_DEP_4) | instskip(NEXT) | instid1(VALU_DEP_3)
	v_and_b32_e32 v0, v0, v1
	v_xor_b32_e32 v3, s15, v3
	s_delay_alu instid0(VALU_DEP_2) | instskip(SKIP_1) | instid1(VALU_DEP_2)
	v_dual_mov_b32 v1, s20 :: v_dual_and_b32 v0, v0, v2
	v_mov_b32_e32 v2, s21
	v_dual_mov_b32 v3, s22 :: v_dual_and_b32 v0, v0, v3
	v_mov_b32_e32 v4, s23
	ds_store_2addr_b64 v15, v[1:2], v[3:4] offset0:4 offset1:5
	ds_store_2addr_b64 v17, v[1:2], v[3:4] offset0:2 offset1:3
	v_mbcnt_lo_u32_b32 v27, v0, 0
	v_lshl_add_u32 v1, v5, 3, v24
	v_cmp_ne_u32_e64 s15, 0, v0
	s_waitcnt lgkmcnt(0)
	s_barrier
	v_cmp_eq_u32_e64 s14, 0, v27
	v_lshl_add_u32 v28, v1, 2, 32
	buffer_gl0_inv
	; wave barrier
	s_and_b32 s15, s15, s14
	s_delay_alu instid0(SALU_CYCLE_1)
	s_and_saveexec_b32 s14, s15
	s_cbranch_execz .LBB30_30
; %bb.29:                               ;   in Loop: Header=BB30_2 Depth=1
	v_bcnt_u32_b32 v0, v0, 0
	ds_store_b32 v28, v0
.LBB30_30:                              ;   in Loop: Header=BB30_2 Depth=1
	s_or_b32 exec_lo, exec_lo, s14
	; wave barrier
	s_waitcnt lgkmcnt(0)
	s_barrier
	buffer_gl0_inv
	ds_load_2addr_b64 v[4:7], v15 offset0:4 offset1:5
	ds_load_2addr_b64 v[0:3], v17 offset0:2 offset1:3
	s_waitcnt lgkmcnt(1)
	v_add_nc_u32_e32 v29, v5, v4
	s_delay_alu instid0(VALU_DEP_1) | instskip(SKIP_1) | instid1(VALU_DEP_1)
	v_add3_u32 v29, v29, v6, v7
	s_waitcnt lgkmcnt(0)
	v_add3_u32 v29, v29, v0, v1
	s_delay_alu instid0(VALU_DEP_1) | instskip(NEXT) | instid1(VALU_DEP_1)
	v_add3_u32 v3, v29, v2, v3
	v_mov_b32_dpp v29, v3 row_shr:1 row_mask:0xf bank_mask:0xf
	s_delay_alu instid0(VALU_DEP_1) | instskip(NEXT) | instid1(VALU_DEP_1)
	v_cndmask_b32_e64 v29, v29, 0, s1
	v_add_nc_u32_e32 v3, v29, v3
	s_delay_alu instid0(VALU_DEP_1) | instskip(NEXT) | instid1(VALU_DEP_1)
	v_mov_b32_dpp v29, v3 row_shr:2 row_mask:0xf bank_mask:0xf
	v_cndmask_b32_e64 v29, 0, v29, s2
	s_delay_alu instid0(VALU_DEP_1) | instskip(NEXT) | instid1(VALU_DEP_1)
	v_add_nc_u32_e32 v3, v3, v29
	v_mov_b32_dpp v29, v3 row_shr:4 row_mask:0xf bank_mask:0xf
	s_delay_alu instid0(VALU_DEP_1) | instskip(NEXT) | instid1(VALU_DEP_1)
	v_cndmask_b32_e64 v29, 0, v29, s3
	v_add_nc_u32_e32 v3, v3, v29
	s_delay_alu instid0(VALU_DEP_1) | instskip(NEXT) | instid1(VALU_DEP_1)
	v_mov_b32_dpp v29, v3 row_shr:8 row_mask:0xf bank_mask:0xf
	v_cndmask_b32_e64 v29, 0, v29, s4
	s_delay_alu instid0(VALU_DEP_1) | instskip(SKIP_3) | instid1(VALU_DEP_1)
	v_add_nc_u32_e32 v3, v3, v29
	ds_swizzle_b32 v29, v3 offset:swizzle(BROADCAST,32,15)
	s_waitcnt lgkmcnt(0)
	v_cndmask_b32_e64 v29, v29, 0, s5
	v_add_nc_u32_e32 v3, v3, v29
	s_and_saveexec_b32 s14, s13
	s_cbranch_execz .LBB30_32
; %bb.31:                               ;   in Loop: Header=BB30_2 Depth=1
	ds_store_b32 v18, v3
.LBB30_32:                              ;   in Loop: Header=BB30_2 Depth=1
	s_or_b32 exec_lo, exec_lo, s14
	s_waitcnt lgkmcnt(0)
	s_barrier
	buffer_gl0_inv
	s_and_saveexec_b32 s14, s6
	s_cbranch_execz .LBB30_34
; %bb.33:                               ;   in Loop: Header=BB30_2 Depth=1
	ds_load_b32 v29, v19
	s_waitcnt lgkmcnt(0)
	v_mov_b32_dpp v30, v29 row_shr:1 row_mask:0xf bank_mask:0xf
	s_delay_alu instid0(VALU_DEP_1) | instskip(NEXT) | instid1(VALU_DEP_1)
	v_cndmask_b32_e64 v30, v30, 0, s10
	v_add_nc_u32_e32 v29, v30, v29
	s_delay_alu instid0(VALU_DEP_1) | instskip(NEXT) | instid1(VALU_DEP_1)
	v_mov_b32_dpp v30, v29 row_shr:2 row_mask:0xf bank_mask:0xf
	v_cndmask_b32_e64 v30, 0, v30, s11
	s_delay_alu instid0(VALU_DEP_1) | instskip(NEXT) | instid1(VALU_DEP_1)
	v_add_nc_u32_e32 v29, v29, v30
	v_mov_b32_dpp v30, v29 row_shr:4 row_mask:0xf bank_mask:0xf
	s_delay_alu instid0(VALU_DEP_1) | instskip(NEXT) | instid1(VALU_DEP_1)
	v_cndmask_b32_e64 v30, 0, v30, s12
	v_add_nc_u32_e32 v29, v29, v30
	ds_store_b32 v19, v29
.LBB30_34:                              ;   in Loop: Header=BB30_2 Depth=1
	s_or_b32 exec_lo, exec_lo, s14
	v_mov_b32_e32 v29, 0
	s_waitcnt lgkmcnt(0)
	s_barrier
	buffer_gl0_inv
	s_and_saveexec_b32 s14, s7
	s_cbranch_execz .LBB30_36
; %bb.35:                               ;   in Loop: Header=BB30_2 Depth=1
	ds_load_b32 v29, v21
.LBB30_36:                              ;   in Loop: Header=BB30_2 Depth=1
	s_or_b32 exec_lo, exec_lo, s14
	s_waitcnt lgkmcnt(0)
	v_add_nc_u32_e32 v3, v29, v3
	ds_bpermute_b32 v3, v20, v3
	s_waitcnt lgkmcnt(0)
	v_cndmask_b32_e64 v3, v3, v29, s0
	s_delay_alu instid0(VALU_DEP_1) | instskip(NEXT) | instid1(VALU_DEP_1)
	v_cndmask_b32_e64 v3, v3, 0, s8
	v_add_nc_u32_e32 v4, v3, v4
	s_delay_alu instid0(VALU_DEP_1) | instskip(NEXT) | instid1(VALU_DEP_1)
	v_add_nc_u32_e32 v5, v4, v5
	v_add_nc_u32_e32 v6, v5, v6
	s_delay_alu instid0(VALU_DEP_1) | instskip(NEXT) | instid1(VALU_DEP_1)
	v_add_nc_u32_e32 v29, v6, v7
	;; [unrolled: 3-line block ×3, first 2 shown]
	v_add_nc_u32_e32 v1, v0, v2
	ds_store_2addr_b64 v15, v[3:4], v[5:6] offset0:4 offset1:5
	ds_store_2addr_b64 v17, v[29:30], v[0:1] offset0:2 offset1:3
	s_waitcnt lgkmcnt(0)
	s_barrier
	buffer_gl0_inv
	ds_load_b32 v0, v28
	v_lshlrev_b32_e32 v1, 2, v27
	s_waitcnt lgkmcnt(0)
	s_barrier
	buffer_gl0_inv
	v_lshl_add_u32 v0, v0, 2, v1
	ds_store_b32 v0, v26
	s_waitcnt lgkmcnt(0)
	s_barrier
	buffer_gl0_inv
	ds_load_b32 v26, v19
	s_waitcnt lgkmcnt(0)
	s_barrier
	buffer_gl0_inv
	s_and_saveexec_b32 s14, vcc_lo
	s_cbranch_execz .LBB30_38
; %bb.37:                               ;   in Loop: Header=BB30_2 Depth=1
	ds_store_2addr_stride64_b32 v19, v25, v25 offset0:8 offset1:12
.LBB30_38:                              ;   in Loop: Header=BB30_2 Depth=1
	s_or_b32 exec_lo, exec_lo, s14
	v_xor_b32_e32 v0, 0x80000000, v26
	s_waitcnt lgkmcnt(0)
	s_barrier
	buffer_gl0_inv
	ds_store_b32 v19, v0
	s_waitcnt lgkmcnt(0)
	s_barrier
	buffer_gl0_inv
	s_and_saveexec_b32 s15, s9
	s_cbranch_execz .LBB30_41
; %bb.39:                               ;   in Loop: Header=BB30_2 Depth=1
	ds_load_b32 v1, v23
	s_waitcnt lgkmcnt(0)
	v_cmp_ne_u32_e64 s14, v1, v0
	s_delay_alu instid0(VALU_DEP_1)
	s_and_b32 exec_lo, exec_lo, s14
	s_cbranch_execz .LBB30_41
; %bb.40:                               ;   in Loop: Header=BB30_2 Depth=1
	v_lshlrev_b32_e32 v1, 2, v0
	ds_store_b32 v1, v10 offset:2048
	ds_load_b32 v1, v23
	s_waitcnt lgkmcnt(0)
	v_lshlrev_b32_e32 v1, 2, v1
	ds_store_b32 v1, v10 offset:3072
.LBB30_41:                              ;   in Loop: Header=BB30_2 Depth=1
	s_or_b32 exec_lo, exec_lo, s15
	s_waitcnt lgkmcnt(0)
	s_barrier
	buffer_gl0_inv
	s_and_saveexec_b32 s14, s8
	s_cbranch_execz .LBB30_43
; %bb.42:                               ;   in Loop: Header=BB30_2 Depth=1
	v_lshlrev_b32_e32 v0, 2, v0
	ds_store_b32 v0, v9 offset:2048
.LBB30_43:                              ;   in Loop: Header=BB30_2 Depth=1
	s_or_b32 exec_lo, exec_lo, s14
	s_waitcnt lgkmcnt(0)
	s_barrier
	buffer_gl0_inv
	s_and_saveexec_b32 s14, vcc_lo
	s_cbranch_execz .LBB30_1
; %bb.44:                               ;   in Loop: Header=BB30_2 Depth=1
	ds_load_2addr_stride64_b32 v[0:1], v19 offset0:8 offset1:12
	ds_load_b32 v2, v16
	s_waitcnt lgkmcnt(1)
	v_sub_nc_u32_e32 v0, v1, v0
	s_waitcnt lgkmcnt(0)
	s_delay_alu instid0(VALU_DEP_1)
	v_add_nc_u32_e32 v0, v0, v2
	ds_store_b32 v16, v0
	s_branch .LBB30_1
.LBB30_45:
	s_and_saveexec_b32 s0, vcc_lo
	s_cbranch_execz .LBB30_47
; %bb.46:
	ds_load_b32 v2, v16
	v_mov_b32_e32 v9, 0
	s_delay_alu instid0(VALU_DEP_1) | instskip(NEXT) | instid1(VALU_DEP_1)
	v_lshlrev_b64 v[0:1], 2, v[8:9]
	v_add_co_u32 v0, vcc_lo, s18, v0
	s_delay_alu instid0(VALU_DEP_2)
	v_add_co_ci_u32_e32 v1, vcc_lo, s19, v1, vcc_lo
	s_waitcnt lgkmcnt(0)
	global_store_b32 v[0:1], v2, off
.LBB30_47:
	s_nop 0
	s_sendmsg sendmsg(MSG_DEALLOC_VGPRS)
	s_endpgm
	.section	.rodata,"a",@progbits
	.p2align	6, 0x0
	.amdhsa_kernel _Z6kernelI9histogramILN6hipcub23BlockHistogramAlgorithmE1EEiLj256ELj1ELj256ELj100EEvPKT0_PS4_
		.amdhsa_group_segment_fixed_size 9248
		.amdhsa_private_segment_fixed_size 0
		.amdhsa_kernarg_size 272
		.amdhsa_user_sgpr_count 15
		.amdhsa_user_sgpr_dispatch_ptr 0
		.amdhsa_user_sgpr_queue_ptr 0
		.amdhsa_user_sgpr_kernarg_segment_ptr 1
		.amdhsa_user_sgpr_dispatch_id 0
		.amdhsa_user_sgpr_private_segment_size 0
		.amdhsa_wavefront_size32 1
		.amdhsa_uses_dynamic_stack 0
		.amdhsa_enable_private_segment 0
		.amdhsa_system_sgpr_workgroup_id_x 1
		.amdhsa_system_sgpr_workgroup_id_y 0
		.amdhsa_system_sgpr_workgroup_id_z 0
		.amdhsa_system_sgpr_workgroup_info 0
		.amdhsa_system_vgpr_workitem_id 2
		.amdhsa_next_free_vgpr 31
		.amdhsa_next_free_sgpr 24
		.amdhsa_reserve_vcc 1
		.amdhsa_float_round_mode_32 0
		.amdhsa_float_round_mode_16_64 0
		.amdhsa_float_denorm_mode_32 3
		.amdhsa_float_denorm_mode_16_64 3
		.amdhsa_dx10_clamp 1
		.amdhsa_ieee_mode 1
		.amdhsa_fp16_overflow 0
		.amdhsa_workgroup_processor_mode 1
		.amdhsa_memory_ordered 1
		.amdhsa_forward_progress 0
		.amdhsa_shared_vgpr_count 0
		.amdhsa_exception_fp_ieee_invalid_op 0
		.amdhsa_exception_fp_denorm_src 0
		.amdhsa_exception_fp_ieee_div_zero 0
		.amdhsa_exception_fp_ieee_overflow 0
		.amdhsa_exception_fp_ieee_underflow 0
		.amdhsa_exception_fp_ieee_inexact 0
		.amdhsa_exception_int_div_zero 0
	.end_amdhsa_kernel
	.section	.text._Z6kernelI9histogramILN6hipcub23BlockHistogramAlgorithmE1EEiLj256ELj1ELj256ELj100EEvPKT0_PS4_,"axG",@progbits,_Z6kernelI9histogramILN6hipcub23BlockHistogramAlgorithmE1EEiLj256ELj1ELj256ELj100EEvPKT0_PS4_,comdat
.Lfunc_end30:
	.size	_Z6kernelI9histogramILN6hipcub23BlockHistogramAlgorithmE1EEiLj256ELj1ELj256ELj100EEvPKT0_PS4_, .Lfunc_end30-_Z6kernelI9histogramILN6hipcub23BlockHistogramAlgorithmE1EEiLj256ELj1ELj256ELj100EEvPKT0_PS4_
                                        ; -- End function
	.section	.AMDGPU.csdata,"",@progbits
; Kernel info:
; codeLenInByte = 4656
; NumSgprs: 26
; NumVgprs: 31
; ScratchSize: 0
; MemoryBound: 0
; FloatMode: 240
; IeeeMode: 1
; LDSByteSize: 9248 bytes/workgroup (compile time only)
; SGPRBlocks: 3
; VGPRBlocks: 3
; NumSGPRsForWavesPerEU: 26
; NumVGPRsForWavesPerEU: 31
; Occupancy: 16
; WaveLimiterHint : 0
; COMPUTE_PGM_RSRC2:SCRATCH_EN: 0
; COMPUTE_PGM_RSRC2:USER_SGPR: 15
; COMPUTE_PGM_RSRC2:TRAP_HANDLER: 0
; COMPUTE_PGM_RSRC2:TGID_X_EN: 1
; COMPUTE_PGM_RSRC2:TGID_Y_EN: 0
; COMPUTE_PGM_RSRC2:TGID_Z_EN: 0
; COMPUTE_PGM_RSRC2:TIDIG_COMP_CNT: 2
	.section	.text._Z6kernelI9histogramILN6hipcub23BlockHistogramAlgorithmE1EEiLj256ELj2ELj256ELj100EEvPKT0_PS4_,"axG",@progbits,_Z6kernelI9histogramILN6hipcub23BlockHistogramAlgorithmE1EEiLj256ELj2ELj256ELj100EEvPKT0_PS4_,comdat
	.protected	_Z6kernelI9histogramILN6hipcub23BlockHistogramAlgorithmE1EEiLj256ELj2ELj256ELj100EEvPKT0_PS4_ ; -- Begin function _Z6kernelI9histogramILN6hipcub23BlockHistogramAlgorithmE1EEiLj256ELj2ELj256ELj100EEvPKT0_PS4_
	.globl	_Z6kernelI9histogramILN6hipcub23BlockHistogramAlgorithmE1EEiLj256ELj2ELj256ELj100EEvPKT0_PS4_
	.p2align	8
	.type	_Z6kernelI9histogramILN6hipcub23BlockHistogramAlgorithmE1EEiLj256ELj2ELj256ELj100EEvPKT0_PS4_,@function
_Z6kernelI9histogramILN6hipcub23BlockHistogramAlgorithmE1EEiLj256ELj2ELj256ELj100EEvPKT0_PS4_: ; @_Z6kernelI9histogramILN6hipcub23BlockHistogramAlgorithmE1EEiLj256ELj2ELj256ELj100EEvPKT0_PS4_
; %bb.0:
	s_mov_b32 s20, 0
	s_load_b128 s[16:19], s[0:1], 0x0
	s_mov_b32 s21, s20
	v_dual_mov_b32 v11, s20 :: v_dual_and_b32 v8, 0x3ff, v0
	s_load_b32 s1, s[0:1], 0x1c
	v_bfe_u32 v3, v0, 10, 10
	s_delay_alu instid0(VALU_DEP_2)
	v_dual_mov_b32 v10, 0 :: v_dual_lshlrev_b32 v15, 1, v8
	v_bfe_u32 v0, v0, 20, 10
	v_mbcnt_lo_u32_b32 v5, -1, 0
	s_mov_b32 s22, s20
	s_mov_b32 s23, s20
	v_lshl_or_b32 v9, s15, 9, v15
	s_delay_alu instid0(VALU_DEP_2) | instskip(SKIP_1) | instid1(VALU_DEP_3)
	v_dual_mov_b32 v13, s22 :: v_dual_lshlrev_b32 v6, 1, v5
	v_dual_mov_b32 v29, 0x200 :: v_dual_lshlrev_b32 v16, 5, v8
	v_lshlrev_b64 v[1:2], 2, v[9:10]
	v_dual_mov_b32 v12, s21 :: v_dual_and_b32 v7, 1, v5
	s_delay_alu instid0(VALU_DEP_3)
	v_mad_i32_i24 v23, 0xffffffe4, v8, v16
	v_cmp_gt_u32_e64 s0, 0x100, v8
	v_add_nc_u32_e32 v18, 32, v16
	s_waitcnt lgkmcnt(0)
	v_add_co_u32 v1, vcc_lo, s16, v1
	v_add_co_ci_u32_e32 v2, vcc_lo, s17, v2, vcc_lo
	s_lshr_b32 s2, s1, 16
	s_and_b32 s1, s1, 0xffff
	v_mad_u32_u24 v0, v0, s2, v3
	global_load_b64 v[1:2], v[1:2], off
	v_cmp_gt_u32_e64 s8, 8, v8
	v_cmp_lt_u32_e64 s9, 31, v8
	v_cmp_eq_u32_e64 s10, 0, v5
	v_mad_u64_u32 v[3:4], null, v0, s1, v[8:9]
	v_and_b32_e32 v0, 15, v5
	v_mov_b32_e32 v14, s23
	v_and_b32_e32 v4, 16, v5
	v_cmp_eq_u32_e64 s1, 0, v7
	v_cmp_eq_u32_e64 s11, 0, v8
	;; [unrolled: 1-line block ×3, first 2 shown]
	v_lshrrev_b32_e32 v19, 5, v3
	v_add_nc_u32_e32 v3, -1, v5
	v_cmp_lt_u32_e64 s3, 1, v0
	v_cmp_lt_u32_e64 s4, 3, v0
	;; [unrolled: 1-line block ×3, first 2 shown]
	v_cmp_eq_u32_e64 s6, 0, v4
	v_cmp_gt_i32_e32 vcc_lo, 0, v3
	v_and_b32_e32 v9, 60, v6
	v_or_b32_e32 v6, 31, v8
	v_lshlrev_b32_e32 v4, 2, v8
	v_cmp_ne_u32_e64 s12, 0, v8
	v_cndmask_b32_e32 v0, v3, v5, vcc_lo
	v_and_b32_e32 v3, 7, v5
	v_or_b32_e32 v17, 64, v9
	v_cmp_eq_u32_e64 s7, v6, v8
	v_add_nc_u32_e32 v26, v23, v4
	v_lshlrev_b32_e32 v20, 2, v0
	v_lshrrev_b32_e32 v0, 3, v8
	v_cmp_eq_u32_e64 s13, 0, v3
	v_cmp_lt_u32_e64 s14, 1, v3
	v_cmp_lt_u32_e64 s16, 3, v3
	v_or_b32_e32 v27, 1, v15
	v_and_b32_e32 v22, 28, v0
	v_and_or_b32 v0, 0x1c0, v15, v5
	v_add_nc_u32_e32 v21, 0x2020, v4
	v_add_nc_u32_e32 v28, -4, v23
	s_delay_alu instid0(VALU_DEP_4) | instskip(NEXT) | instid1(VALU_DEP_4)
	v_add_nc_u32_e32 v24, -4, v22
	v_lshlrev_b32_e32 v25, 2, v0
	s_branch .LBB31_2
.LBB31_1:                               ;   in Loop: Header=BB31_2 Depth=1
	s_or_b32 exec_lo, exec_lo, s17
	s_add_i32 s20, s20, 1
	s_delay_alu instid0(SALU_CYCLE_1)
	s_cmpk_eq_i32 s20, 0x64
	s_cbranch_scc1 .LBB31_29
.LBB31_2:                               ; =>This Loop Header: Depth=1
                                        ;     Child Loop BB31_6 Depth 2
	s_and_saveexec_b32 s17, s0
	s_cbranch_execz .LBB31_4
; %bb.3:                                ;   in Loop: Header=BB31_2 Depth=1
	ds_store_b32 v21, v10
.LBB31_4:                               ;   in Loop: Header=BB31_2 Depth=1
	s_or_b32 exec_lo, exec_lo, s17
	s_waitcnt vmcnt(0)
	v_xor_b32_e32 v0, 0x80000000, v1
	v_xor_b32_e32 v1, 0x80000000, v2
	s_mov_b32 s21, 0
	s_waitcnt lgkmcnt(0)
	s_barrier
	ds_bpermute_b32 v2, v9, v0
	ds_bpermute_b32 v3, v9, v1
	;; [unrolled: 1-line block ×4, first 2 shown]
	s_waitcnt lgkmcnt(0)
	buffer_gl0_inv
	s_barrier
	v_cndmask_b32_e64 v0, v3, v2, s1
	v_cndmask_b32_e64 v1, v1, v4, s1
	s_branch .LBB31_6
.LBB31_5:                               ;   in Loop: Header=BB31_6 Depth=2
	s_delay_alu instid0(VALU_DEP_2) | instskip(NEXT) | instid1(VALU_DEP_2)
	v_lshlrev_b32_e32 v0, 2, v3
	v_lshlrev_b32_e32 v1, 2, v2
	s_barrier
	buffer_gl0_inv
	ds_store_b32 v0, v30
	ds_store_b32 v1, v31
	s_waitcnt lgkmcnt(0)
	s_barrier
	buffer_gl0_inv
	ds_load_2addr_b32 v[0:1], v25 offset1:32
	s_add_i32 s21, s21, 8
	s_waitcnt lgkmcnt(0)
	s_barrier
	s_cbranch_execz .LBB31_18
.LBB31_6:                               ;   Parent Loop BB31_2 Depth=1
                                        ; =>  This Inner Loop Header: Depth=2
	s_delay_alu instid0(VALU_DEP_2)
	v_mov_b32_e32 v30, v0
	buffer_gl0_inv
	ds_store_2addr_b64 v16, v[11:12], v[13:14] offset0:4 offset1:5
	ds_store_2addr_b64 v18, v[11:12], v[13:14] offset0:2 offset1:3
	s_waitcnt lgkmcnt(0)
	s_barrier
	v_lshrrev_b32_e32 v2, s21, v30
	buffer_gl0_inv
	; wave barrier
	v_lshlrev_b32_e32 v5, 29, v2
	v_bfe_u32 v0, v30, s21, 1
	v_lshlrev_b32_e32 v4, 30, v2
	v_lshlrev_b32_e32 v6, 28, v2
	;; [unrolled: 1-line block ×4, first 2 shown]
	v_add_co_u32 v0, s17, v0, -1
	s_delay_alu instid0(VALU_DEP_1) | instskip(SKIP_3) | instid1(VALU_DEP_4)
	v_cndmask_b32_e64 v3, 0, 1, s17
	v_cmp_gt_i32_e64 s17, 0, v4
	v_lshlrev_b32_e32 v32, 25, v2
	v_lshlrev_b32_e32 v2, 24, v2
	v_cmp_ne_u32_e32 vcc_lo, 0, v3
	v_not_b32_e32 v3, v4
	v_not_b32_e32 v4, v5
	v_xor_b32_e32 v0, vcc_lo, v0
	s_delay_alu instid0(VALU_DEP_3)
	v_ashrrev_i32_e32 v3, 31, v3
	v_cmp_gt_i32_e32 vcc_lo, 0, v5
	v_not_b32_e32 v5, v6
	v_ashrrev_i32_e32 v4, 31, v4
	v_and_b32_e32 v0, exec_lo, v0
	v_xor_b32_e32 v3, s17, v3
	v_cmp_gt_i32_e64 s17, 0, v6
	v_not_b32_e32 v6, v7
	v_ashrrev_i32_e32 v5, 31, v5
	v_xor_b32_e32 v4, vcc_lo, v4
	v_and_b32_e32 v0, v0, v3
	v_cmp_gt_i32_e32 vcc_lo, 0, v7
	v_not_b32_e32 v3, v31
	v_ashrrev_i32_e32 v6, 31, v6
	v_xor_b32_e32 v5, s17, v5
	v_and_b32_e32 v0, v0, v4
	v_cmp_gt_i32_e64 s17, 0, v31
	v_mov_b32_e32 v31, v1
	v_not_b32_e32 v4, v32
	v_ashrrev_i32_e32 v3, 31, v3
	v_xor_b32_e32 v6, vcc_lo, v6
	v_and_b32_e32 v0, v0, v5
	v_cmp_gt_i32_e32 vcc_lo, 0, v32
	v_not_b32_e32 v5, v2
	v_ashrrev_i32_e32 v4, 31, v4
	v_xor_b32_e32 v3, s17, v3
	v_and_b32_e32 v0, v0, v6
	v_cmp_gt_i32_e64 s17, 0, v2
	v_ashrrev_i32_e32 v2, 31, v5
	v_xor_b32_e32 v4, vcc_lo, v4
	v_bfe_u32 v1, v30, s21, 8
	v_and_b32_e32 v0, v0, v3
	s_delay_alu instid0(VALU_DEP_4) | instskip(NEXT) | instid1(VALU_DEP_3)
	v_xor_b32_e32 v2, s17, v2
	v_lshl_add_u32 v1, v1, 3, v19
	s_delay_alu instid0(VALU_DEP_3) | instskip(NEXT) | instid1(VALU_DEP_2)
	v_and_b32_e32 v0, v0, v4
	v_lshl_add_u32 v33, v1, 2, 32
	s_delay_alu instid0(VALU_DEP_2) | instskip(NEXT) | instid1(VALU_DEP_1)
	v_and_b32_e32 v0, v0, v2
	v_mbcnt_lo_u32_b32 v32, v0, 0
	v_cmp_ne_u32_e64 s17, 0, v0
	s_delay_alu instid0(VALU_DEP_2) | instskip(NEXT) | instid1(VALU_DEP_2)
	v_cmp_eq_u32_e32 vcc_lo, 0, v32
	s_and_b32 s22, s17, vcc_lo
	s_delay_alu instid0(SALU_CYCLE_1)
	s_and_saveexec_b32 s17, s22
	s_cbranch_execz .LBB31_8
; %bb.7:                                ;   in Loop: Header=BB31_6 Depth=2
	v_bcnt_u32_b32 v0, v0, 0
	ds_store_b32 v33, v0
.LBB31_8:                               ;   in Loop: Header=BB31_6 Depth=2
	s_or_b32 exec_lo, exec_lo, s17
	v_bfe_u32 v0, v31, s21, 1
	v_lshrrev_b32_e32 v1, s21, v31
	; wave barrier
	s_delay_alu instid0(VALU_DEP_2) | instskip(NEXT) | instid1(VALU_DEP_1)
	v_add_co_u32 v0, s17, v0, -1
	v_cndmask_b32_e64 v2, 0, 1, s17
	s_delay_alu instid0(VALU_DEP_3)
	v_lshlrev_b32_e32 v3, 30, v1
	v_lshlrev_b32_e32 v4, 29, v1
	v_lshlrev_b32_e32 v5, 28, v1
	v_lshlrev_b32_e32 v6, 27, v1
	v_cmp_ne_u32_e32 vcc_lo, 0, v2
	v_not_b32_e32 v2, v3
	v_cmp_gt_i32_e64 s17, 0, v3
	v_not_b32_e32 v3, v4
	v_lshlrev_b32_e32 v7, 26, v1
	v_xor_b32_e32 v0, vcc_lo, v0
	v_ashrrev_i32_e32 v2, 31, v2
	v_cmp_gt_i32_e32 vcc_lo, 0, v4
	v_not_b32_e32 v4, v5
	v_ashrrev_i32_e32 v3, 31, v3
	v_and_b32_e32 v0, exec_lo, v0
	v_xor_b32_e32 v2, s17, v2
	v_cmp_gt_i32_e64 s17, 0, v5
	v_not_b32_e32 v5, v6
	v_ashrrev_i32_e32 v4, 31, v4
	v_xor_b32_e32 v3, vcc_lo, v3
	v_and_b32_e32 v0, v0, v2
	v_cmp_gt_i32_e32 vcc_lo, 0, v6
	v_not_b32_e32 v2, v7
	v_ashrrev_i32_e32 v5, 31, v5
	v_xor_b32_e32 v4, s17, v4
	v_and_b32_e32 v0, v0, v3
	v_lshlrev_b32_e32 v3, 25, v1
	v_cmp_gt_i32_e64 s17, 0, v7
	v_ashrrev_i32_e32 v2, 31, v2
	v_xor_b32_e32 v5, vcc_lo, v5
	v_and_b32_e32 v0, v0, v4
	v_not_b32_e32 v6, v3
	v_lshlrev_b32_e32 v1, 24, v1
	v_bfe_u32 v4, v31, s21, 8
	v_xor_b32_e32 v2, s17, v2
	v_and_b32_e32 v0, v0, v5
	v_cmp_gt_i32_e32 vcc_lo, 0, v3
	v_ashrrev_i32_e32 v3, 31, v6
	v_not_b32_e32 v5, v1
	v_lshlrev_b32_e32 v4, 3, v4
	v_and_b32_e32 v0, v0, v2
	s_delay_alu instid0(VALU_DEP_4) | instskip(SKIP_3) | instid1(VALU_DEP_4)
	v_xor_b32_e32 v2, vcc_lo, v3
	v_cmp_gt_i32_e32 vcc_lo, 0, v1
	v_ashrrev_i32_e32 v1, 31, v5
	v_add_lshl_u32 v3, v4, v19, 2
	v_and_b32_e32 v0, v0, v2
	s_delay_alu instid0(VALU_DEP_3) | instskip(SKIP_3) | instid1(VALU_DEP_1)
	v_xor_b32_e32 v1, vcc_lo, v1
	ds_load_b32 v34, v3 offset:32
	v_add_nc_u32_e32 v36, 32, v3
	; wave barrier
	v_and_b32_e32 v0, v0, v1
	v_mbcnt_lo_u32_b32 v35, v0, 0
	v_cmp_ne_u32_e64 s17, 0, v0
	s_delay_alu instid0(VALU_DEP_2) | instskip(NEXT) | instid1(VALU_DEP_2)
	v_cmp_eq_u32_e32 vcc_lo, 0, v35
	s_and_b32 s22, s17, vcc_lo
	s_delay_alu instid0(SALU_CYCLE_1)
	s_and_saveexec_b32 s17, s22
	s_cbranch_execz .LBB31_10
; %bb.9:                                ;   in Loop: Header=BB31_6 Depth=2
	s_waitcnt lgkmcnt(0)
	v_bcnt_u32_b32 v0, v0, v34
	ds_store_b32 v36, v0
.LBB31_10:                              ;   in Loop: Header=BB31_6 Depth=2
	s_or_b32 exec_lo, exec_lo, s17
	; wave barrier
	s_waitcnt lgkmcnt(0)
	s_barrier
	buffer_gl0_inv
	ds_load_2addr_b64 v[4:7], v16 offset0:4 offset1:5
	ds_load_2addr_b64 v[0:3], v18 offset0:2 offset1:3
	s_waitcnt lgkmcnt(1)
	v_add_nc_u32_e32 v37, v5, v4
	s_delay_alu instid0(VALU_DEP_1) | instskip(SKIP_1) | instid1(VALU_DEP_1)
	v_add3_u32 v37, v37, v6, v7
	s_waitcnt lgkmcnt(0)
	v_add3_u32 v37, v37, v0, v1
	s_delay_alu instid0(VALU_DEP_1) | instskip(NEXT) | instid1(VALU_DEP_1)
	v_add3_u32 v3, v37, v2, v3
	v_mov_b32_dpp v37, v3 row_shr:1 row_mask:0xf bank_mask:0xf
	s_delay_alu instid0(VALU_DEP_1) | instskip(NEXT) | instid1(VALU_DEP_1)
	v_cndmask_b32_e64 v37, v37, 0, s2
	v_add_nc_u32_e32 v3, v37, v3
	s_delay_alu instid0(VALU_DEP_1) | instskip(NEXT) | instid1(VALU_DEP_1)
	v_mov_b32_dpp v37, v3 row_shr:2 row_mask:0xf bank_mask:0xf
	v_cndmask_b32_e64 v37, 0, v37, s3
	s_delay_alu instid0(VALU_DEP_1) | instskip(NEXT) | instid1(VALU_DEP_1)
	v_add_nc_u32_e32 v3, v3, v37
	v_mov_b32_dpp v37, v3 row_shr:4 row_mask:0xf bank_mask:0xf
	s_delay_alu instid0(VALU_DEP_1) | instskip(NEXT) | instid1(VALU_DEP_1)
	v_cndmask_b32_e64 v37, 0, v37, s4
	v_add_nc_u32_e32 v3, v3, v37
	s_delay_alu instid0(VALU_DEP_1) | instskip(NEXT) | instid1(VALU_DEP_1)
	v_mov_b32_dpp v37, v3 row_shr:8 row_mask:0xf bank_mask:0xf
	v_cndmask_b32_e64 v37, 0, v37, s5
	s_delay_alu instid0(VALU_DEP_1) | instskip(SKIP_3) | instid1(VALU_DEP_1)
	v_add_nc_u32_e32 v3, v3, v37
	ds_swizzle_b32 v37, v3 offset:swizzle(BROADCAST,32,15)
	s_waitcnt lgkmcnt(0)
	v_cndmask_b32_e64 v37, v37, 0, s6
	v_add_nc_u32_e32 v3, v3, v37
	s_and_saveexec_b32 s17, s7
	s_cbranch_execz .LBB31_12
; %bb.11:                               ;   in Loop: Header=BB31_6 Depth=2
	ds_store_b32 v22, v3
.LBB31_12:                              ;   in Loop: Header=BB31_6 Depth=2
	s_or_b32 exec_lo, exec_lo, s17
	s_waitcnt lgkmcnt(0)
	s_barrier
	buffer_gl0_inv
	s_and_saveexec_b32 s17, s8
	s_cbranch_execz .LBB31_14
; %bb.13:                               ;   in Loop: Header=BB31_6 Depth=2
	ds_load_b32 v37, v23
	s_waitcnt lgkmcnt(0)
	v_mov_b32_dpp v38, v37 row_shr:1 row_mask:0xf bank_mask:0xf
	s_delay_alu instid0(VALU_DEP_1) | instskip(NEXT) | instid1(VALU_DEP_1)
	v_cndmask_b32_e64 v38, v38, 0, s13
	v_add_nc_u32_e32 v37, v38, v37
	s_delay_alu instid0(VALU_DEP_1) | instskip(NEXT) | instid1(VALU_DEP_1)
	v_mov_b32_dpp v38, v37 row_shr:2 row_mask:0xf bank_mask:0xf
	v_cndmask_b32_e64 v38, 0, v38, s14
	s_delay_alu instid0(VALU_DEP_1) | instskip(NEXT) | instid1(VALU_DEP_1)
	v_add_nc_u32_e32 v37, v37, v38
	v_mov_b32_dpp v38, v37 row_shr:4 row_mask:0xf bank_mask:0xf
	s_delay_alu instid0(VALU_DEP_1) | instskip(NEXT) | instid1(VALU_DEP_1)
	v_cndmask_b32_e64 v38, 0, v38, s16
	v_add_nc_u32_e32 v37, v37, v38
	ds_store_b32 v23, v37
.LBB31_14:                              ;   in Loop: Header=BB31_6 Depth=2
	s_or_b32 exec_lo, exec_lo, s17
	v_mov_b32_e32 v37, 0
	s_waitcnt lgkmcnt(0)
	s_barrier
	buffer_gl0_inv
	s_and_saveexec_b32 s17, s9
	s_cbranch_execz .LBB31_16
; %bb.15:                               ;   in Loop: Header=BB31_6 Depth=2
	ds_load_b32 v37, v24
.LBB31_16:                              ;   in Loop: Header=BB31_6 Depth=2
	s_or_b32 exec_lo, exec_lo, s17
	s_waitcnt lgkmcnt(0)
	v_add_nc_u32_e32 v3, v37, v3
	s_cmp_gt_u32 s21, 23
	ds_bpermute_b32 v3, v20, v3
	s_waitcnt lgkmcnt(0)
	v_cndmask_b32_e64 v3, v3, v37, s10
	s_delay_alu instid0(VALU_DEP_1) | instskip(NEXT) | instid1(VALU_DEP_1)
	v_cndmask_b32_e64 v3, v3, 0, s11
	v_add_nc_u32_e32 v4, v3, v4
	s_delay_alu instid0(VALU_DEP_1) | instskip(NEXT) | instid1(VALU_DEP_1)
	v_add_nc_u32_e32 v5, v4, v5
	v_add_nc_u32_e32 v6, v5, v6
	s_delay_alu instid0(VALU_DEP_1) | instskip(NEXT) | instid1(VALU_DEP_1)
	v_add_nc_u32_e32 v37, v6, v7
	;; [unrolled: 3-line block ×3, first 2 shown]
	v_add_nc_u32_e32 v1, v0, v2
	ds_store_2addr_b64 v16, v[3:4], v[5:6] offset0:4 offset1:5
	ds_store_2addr_b64 v18, v[37:38], v[0:1] offset0:2 offset1:3
	s_waitcnt lgkmcnt(0)
	s_barrier
	buffer_gl0_inv
	ds_load_b32 v0, v33
	ds_load_b32 v1, v36
	s_waitcnt lgkmcnt(1)
	v_add_nc_u32_e32 v3, v0, v32
	s_waitcnt lgkmcnt(0)
	v_add3_u32 v2, v35, v34, v1
	s_cbranch_scc0 .LBB31_5
; %bb.17:                               ;   in Loop: Header=BB31_2 Depth=1
                                        ; implicit-def: $vgpr1
                                        ; implicit-def: $sgpr21
.LBB31_18:                              ;   in Loop: Header=BB31_2 Depth=1
	s_delay_alu instid0(VALU_DEP_2) | instskip(NEXT) | instid1(VALU_DEP_2)
	v_lshlrev_b32_e32 v0, 2, v3
	v_lshlrev_b32_e32 v1, 2, v2
	s_barrier
	buffer_gl0_inv
	ds_store_b32 v0, v30
	ds_store_b32 v1, v31
	s_waitcnt lgkmcnt(0)
	s_barrier
	buffer_gl0_inv
	ds_load_b64 v[3:4], v26
	s_waitcnt lgkmcnt(0)
	s_barrier
	buffer_gl0_inv
	s_and_saveexec_b32 s17, s0
	s_cbranch_execz .LBB31_20
; %bb.19:                               ;   in Loop: Header=BB31_2 Depth=1
	ds_store_2addr_stride64_b32 v23, v29, v29 offset0:8 offset1:12
.LBB31_20:                              ;   in Loop: Header=BB31_2 Depth=1
	s_or_b32 exec_lo, exec_lo, s17
	v_xor_b32_e32 v1, 0x80000000, v3
	v_xor_b32_e32 v2, 0x80000000, v4
	s_mov_b32 s17, exec_lo
	s_waitcnt lgkmcnt(0)
	s_barrier
	v_lshlrev_b32_e32 v0, 2, v1
	buffer_gl0_inv
	ds_store_b32 v23, v2
	v_cmpx_ne_u32_e64 v3, v4
	s_cbranch_execz .LBB31_22
; %bb.21:                               ;   in Loop: Header=BB31_2 Depth=1
	v_lshlrev_b32_e32 v3, 2, v2
	ds_store_b32 v3, v27 offset:2048
	ds_store_b32 v0, v27 offset:3072
.LBB31_22:                              ;   in Loop: Header=BB31_2 Depth=1
	s_or_b32 exec_lo, exec_lo, s17
	s_waitcnt lgkmcnt(0)
	s_barrier
	buffer_gl0_inv
	s_and_saveexec_b32 s17, s12
	s_cbranch_execz .LBB31_25
; %bb.23:                               ;   in Loop: Header=BB31_2 Depth=1
	ds_load_b32 v3, v28
	s_waitcnt lgkmcnt(0)
	v_cmp_ne_u32_e32 vcc_lo, v3, v1
	s_and_b32 exec_lo, exec_lo, vcc_lo
	s_cbranch_execz .LBB31_25
; %bb.24:                               ;   in Loop: Header=BB31_2 Depth=1
	ds_store_b32 v0, v15 offset:2048
	ds_load_b32 v3, v28
	s_waitcnt lgkmcnt(0)
	v_lshlrev_b32_e32 v3, 2, v3
	ds_store_b32 v3, v15 offset:3072
.LBB31_25:                              ;   in Loop: Header=BB31_2 Depth=1
	s_or_b32 exec_lo, exec_lo, s17
	s_waitcnt lgkmcnt(0)
	s_barrier
	buffer_gl0_inv
	s_and_saveexec_b32 s17, s11
	s_cbranch_execz .LBB31_27
; %bb.26:                               ;   in Loop: Header=BB31_2 Depth=1
	ds_store_b32 v0, v10 offset:2048
.LBB31_27:                              ;   in Loop: Header=BB31_2 Depth=1
	s_or_b32 exec_lo, exec_lo, s17
	s_waitcnt lgkmcnt(0)
	s_barrier
	buffer_gl0_inv
	s_and_saveexec_b32 s17, s0
	s_cbranch_execz .LBB31_1
; %bb.28:                               ;   in Loop: Header=BB31_2 Depth=1
	ds_load_2addr_stride64_b32 v[3:4], v23 offset0:8 offset1:12
	ds_load_b32 v0, v21
	s_waitcnt lgkmcnt(1)
	v_sub_nc_u32_e32 v3, v4, v3
	s_waitcnt lgkmcnt(0)
	s_delay_alu instid0(VALU_DEP_1)
	v_add_nc_u32_e32 v0, v3, v0
	ds_store_b32 v21, v0
	s_branch .LBB31_1
.LBB31_29:
	s_and_saveexec_b32 s1, s0
	s_cbranch_execz .LBB31_31
; %bb.30:
	ds_load_b32 v2, v21
	v_lshl_or_b32 v0, s15, 8, v8
	v_mov_b32_e32 v1, 0
	s_delay_alu instid0(VALU_DEP_1) | instskip(NEXT) | instid1(VALU_DEP_1)
	v_lshlrev_b64 v[0:1], 2, v[0:1]
	v_add_co_u32 v0, vcc_lo, s18, v0
	s_delay_alu instid0(VALU_DEP_2)
	v_add_co_ci_u32_e32 v1, vcc_lo, s19, v1, vcc_lo
	s_waitcnt lgkmcnt(0)
	global_store_b32 v[0:1], v2, off
.LBB31_31:
	s_nop 0
	s_sendmsg sendmsg(MSG_DEALLOC_VGPRS)
	s_endpgm
	.section	.rodata,"a",@progbits
	.p2align	6, 0x0
	.amdhsa_kernel _Z6kernelI9histogramILN6hipcub23BlockHistogramAlgorithmE1EEiLj256ELj2ELj256ELj100EEvPKT0_PS4_
		.amdhsa_group_segment_fixed_size 9248
		.amdhsa_private_segment_fixed_size 0
		.amdhsa_kernarg_size 272
		.amdhsa_user_sgpr_count 15
		.amdhsa_user_sgpr_dispatch_ptr 0
		.amdhsa_user_sgpr_queue_ptr 0
		.amdhsa_user_sgpr_kernarg_segment_ptr 1
		.amdhsa_user_sgpr_dispatch_id 0
		.amdhsa_user_sgpr_private_segment_size 0
		.amdhsa_wavefront_size32 1
		.amdhsa_uses_dynamic_stack 0
		.amdhsa_enable_private_segment 0
		.amdhsa_system_sgpr_workgroup_id_x 1
		.amdhsa_system_sgpr_workgroup_id_y 0
		.amdhsa_system_sgpr_workgroup_id_z 0
		.amdhsa_system_sgpr_workgroup_info 0
		.amdhsa_system_vgpr_workitem_id 2
		.amdhsa_next_free_vgpr 39
		.amdhsa_next_free_sgpr 24
		.amdhsa_reserve_vcc 1
		.amdhsa_float_round_mode_32 0
		.amdhsa_float_round_mode_16_64 0
		.amdhsa_float_denorm_mode_32 3
		.amdhsa_float_denorm_mode_16_64 3
		.amdhsa_dx10_clamp 1
		.amdhsa_ieee_mode 1
		.amdhsa_fp16_overflow 0
		.amdhsa_workgroup_processor_mode 1
		.amdhsa_memory_ordered 1
		.amdhsa_forward_progress 0
		.amdhsa_shared_vgpr_count 0
		.amdhsa_exception_fp_ieee_invalid_op 0
		.amdhsa_exception_fp_denorm_src 0
		.amdhsa_exception_fp_ieee_div_zero 0
		.amdhsa_exception_fp_ieee_overflow 0
		.amdhsa_exception_fp_ieee_underflow 0
		.amdhsa_exception_fp_ieee_inexact 0
		.amdhsa_exception_int_div_zero 0
	.end_amdhsa_kernel
	.section	.text._Z6kernelI9histogramILN6hipcub23BlockHistogramAlgorithmE1EEiLj256ELj2ELj256ELj100EEvPKT0_PS4_,"axG",@progbits,_Z6kernelI9histogramILN6hipcub23BlockHistogramAlgorithmE1EEiLj256ELj2ELj256ELj100EEvPKT0_PS4_,comdat
.Lfunc_end31:
	.size	_Z6kernelI9histogramILN6hipcub23BlockHistogramAlgorithmE1EEiLj256ELj2ELj256ELj100EEvPKT0_PS4_, .Lfunc_end31-_Z6kernelI9histogramILN6hipcub23BlockHistogramAlgorithmE1EEiLj256ELj2ELj256ELj100EEvPKT0_PS4_
                                        ; -- End function
	.section	.AMDGPU.csdata,"",@progbits
; Kernel info:
; codeLenInByte = 2372
; NumSgprs: 26
; NumVgprs: 39
; ScratchSize: 0
; MemoryBound: 0
; FloatMode: 240
; IeeeMode: 1
; LDSByteSize: 9248 bytes/workgroup (compile time only)
; SGPRBlocks: 3
; VGPRBlocks: 4
; NumSGPRsForWavesPerEU: 26
; NumVGPRsForWavesPerEU: 39
; Occupancy: 16
; WaveLimiterHint : 0
; COMPUTE_PGM_RSRC2:SCRATCH_EN: 0
; COMPUTE_PGM_RSRC2:USER_SGPR: 15
; COMPUTE_PGM_RSRC2:TRAP_HANDLER: 0
; COMPUTE_PGM_RSRC2:TGID_X_EN: 1
; COMPUTE_PGM_RSRC2:TGID_Y_EN: 0
; COMPUTE_PGM_RSRC2:TGID_Z_EN: 0
; COMPUTE_PGM_RSRC2:TIDIG_COMP_CNT: 2
	.section	.text._Z6kernelI9histogramILN6hipcub23BlockHistogramAlgorithmE1EEiLj256ELj3ELj256ELj100EEvPKT0_PS4_,"axG",@progbits,_Z6kernelI9histogramILN6hipcub23BlockHistogramAlgorithmE1EEiLj256ELj3ELj256ELj100EEvPKT0_PS4_,comdat
	.protected	_Z6kernelI9histogramILN6hipcub23BlockHistogramAlgorithmE1EEiLj256ELj3ELj256ELj100EEvPKT0_PS4_ ; -- Begin function _Z6kernelI9histogramILN6hipcub23BlockHistogramAlgorithmE1EEiLj256ELj3ELj256ELj100EEvPKT0_PS4_
	.globl	_Z6kernelI9histogramILN6hipcub23BlockHistogramAlgorithmE1EEiLj256ELj3ELj256ELj100EEvPKT0_PS4_
	.p2align	8
	.type	_Z6kernelI9histogramILN6hipcub23BlockHistogramAlgorithmE1EEiLj256ELj3ELj256ELj100EEvPKT0_PS4_,@function
_Z6kernelI9histogramILN6hipcub23BlockHistogramAlgorithmE1EEiLj256ELj3ELj256ELj100EEvPKT0_PS4_: ; @_Z6kernelI9histogramILN6hipcub23BlockHistogramAlgorithmE1EEiLj256ELj3ELj256ELj100EEvPKT0_PS4_
; %bb.0:
	v_and_b32_e32 v4, 0x3ff, v0
	s_lshl_b32 s2, s15, 8
	s_clause 0x1
	s_load_b128 s[16:19], s[0:1], 0x0
	s_load_b32 s0, s[0:1], 0x1c
	v_mov_b32_e32 v30, 0x300
	v_or_b32_e32 v8, s2, v4
	s_delay_alu instid0(VALU_DEP_1) | instskip(NEXT) | instid1(VALU_DEP_1)
	v_lshl_add_u32 v9, v8, 1, v8
	v_dual_mov_b32 v10, 0 :: v_dual_add_nc_u32 v1, 1, v9
	s_delay_alu instid0(VALU_DEP_1) | instskip(SKIP_2) | instid1(VALU_DEP_3)
	v_mov_b32_e32 v2, v10
	v_lshlrev_b64 v[5:6], 2, v[9:10]
	v_add_nc_u32_e32 v9, 2, v9
	v_lshlrev_b64 v[1:2], 2, v[1:2]
	s_delay_alu instid0(VALU_DEP_2) | instskip(SKIP_1) | instid1(VALU_DEP_4)
	v_lshlrev_b64 v[11:12], 2, v[9:10]
	s_waitcnt lgkmcnt(0)
	v_add_co_u32 v5, vcc_lo, s16, v5
	v_add_co_ci_u32_e32 v6, vcc_lo, s17, v6, vcc_lo
	s_delay_alu instid0(VALU_DEP_4)
	v_add_co_u32 v13, vcc_lo, s16, v1
	v_add_co_ci_u32_e32 v14, vcc_lo, s17, v2, vcc_lo
	v_add_co_u32 v11, vcc_lo, s16, v11
	v_add_co_ci_u32_e32 v12, vcc_lo, s17, v12, vcc_lo
	s_clause 0x2
	global_load_b32 v1, v[5:6], off
	global_load_b32 v2, v[13:14], off
	;; [unrolled: 1-line block ×3, first 2 shown]
	v_bfe_u32 v5, v0, 10, 10
	v_bfe_u32 v0, v0, 20, 10
	s_lshr_b32 s1, s0, 16
	s_and_b32 s0, s0, 0xffff
	v_mbcnt_lo_u32_b32 v11, -1, 0
	s_mov_b32 s16, 0
	v_mad_u32_u24 v0, v0, s1, v5
	s_mov_b32 s20, s16
	s_mov_b32 s21, s16
	;; [unrolled: 1-line block ×3, first 2 shown]
	v_cmp_eq_u32_e64 s9, 0, v11
	v_mad_u64_u32 v[5:6], null, v0, s0, v[4:5]
	v_and_b32_e32 v6, 15, v11
	s_delay_alu instid0(VALU_DEP_2) | instskip(SKIP_1) | instid1(VALU_DEP_1)
	v_lshrrev_b32_e32 v18, 5, v5
	v_add_nc_u32_e32 v5, -1, v11
	v_cmp_gt_i32_e32 vcc_lo, 0, v5
	v_cndmask_b32_e32 v5, v5, v11, vcc_lo
	v_lshrrev_b32_e32 v7, 5, v4
	v_cmp_gt_u32_e64 s0, 0x100, v4
	v_cmp_gt_u32_e64 s7, 8, v4
	v_cmp_lt_u32_e64 s8, 31, v4
	v_lshlrev_b32_e32 v19, 2, v5
	v_mul_u32_u24_e32 v9, 0x60, v7
	v_and_b32_e32 v5, 7, v11
	v_lshlrev_b32_e32 v21, 2, v7
	v_cmp_eq_u32_e64 s10, 0, v4
	v_cmp_ne_u32_e64 s11, 0, v4
	v_or_b32_e32 v0, v11, v9
	v_lshlrev_b32_e32 v12, 2, v9
	v_lshlrev_b32_e32 v9, 5, v4
	v_cmp_eq_u32_e64 s12, 0, v5
	v_cmp_lt_u32_e64 s13, 1, v5
	v_lshlrev_b32_e32 v16, 2, v0
	v_and_b32_e32 v0, 0xe0, v4
	v_cmp_lt_u32_e64 s14, 3, v5
	v_add_nc_u32_e32 v23, -4, v21
	v_mul_u32_u24_e32 v25, 3, v4
	v_mad_u32_u24 v27, v4, 3, 1
	v_or_b32_e32 v13, 31, v0
	v_mul_u32_u24_e32 v0, 3, v0
	v_mad_u32_u24 v28, v4, 3, 2
	v_lshl_add_u32 v20, v4, 2, 0x2020
	s_delay_alu instid0(VALU_DEP_4)
	v_cmp_eq_u32_e64 s6, v13, v4
	v_mov_b32_e32 v13, s20
	v_mad_u32_u24 v15, v11, 12, v12
	v_and_b32_e32 v12, 16, v11
	v_or_b32_e32 v0, v11, v0
	v_mov_b32_e32 v14, s21
	s_delay_alu instid0(VALU_DEP_3)
	v_cmp_eq_u32_e64 s5, 0, v12
	v_dual_mov_b32 v11, s16 :: v_dual_mov_b32 v12, s17
	v_mad_i32_i24 v22, 0xffffffe4, v4, v9
	v_add_nc_u32_e32 v17, 32, v9
	v_cmp_eq_u32_e64 s1, 0, v6
	v_cmp_lt_u32_e64 s2, 1, v6
	v_cmp_lt_u32_e64 s3, 3, v6
	;; [unrolled: 1-line block ×3, first 2 shown]
	v_lshlrev_b32_e32 v24, 2, v0
	v_lshl_add_u32 v26, v4, 3, v22
	v_add_nc_u32_e32 v29, -4, v22
	s_branch .LBB32_2
.LBB32_1:                               ;   in Loop: Header=BB32_2 Depth=1
	s_or_b32 exec_lo, exec_lo, s15
	s_add_i32 s16, s16, 1
	s_delay_alu instid0(SALU_CYCLE_1)
	s_cmpk_eq_i32 s16, 0x64
	s_cbranch_scc1 .LBB32_33
.LBB32_2:                               ; =>This Loop Header: Depth=1
                                        ;     Child Loop BB32_6 Depth 2
	s_and_saveexec_b32 s15, s0
	s_cbranch_execz .LBB32_4
; %bb.3:                                ;   in Loop: Header=BB32_2 Depth=1
	ds_store_b32 v20, v10
.LBB32_4:                               ;   in Loop: Header=BB32_2 Depth=1
	s_or_b32 exec_lo, exec_lo, s15
	s_waitcnt vmcnt(2)
	v_xor_b32_e32 v0, 0x80000000, v1
	s_waitcnt vmcnt(1)
	v_xor_b32_e32 v1, 0x80000000, v2
	;; [unrolled: 2-line block ×3, first 2 shown]
	s_waitcnt lgkmcnt(0)
	s_barrier
	buffer_gl0_inv
	ds_store_2addr_b32 v15, v0, v1 offset1:1
	ds_store_b32 v15, v2 offset:8
	; wave barrier
	ds_load_2addr_b32 v[0:1], v16 offset1:32
	ds_load_b32 v2, v16 offset:256
	s_mov_b32 s17, 0
	s_waitcnt lgkmcnt(0)
	s_barrier
	buffer_gl0_inv
	; wave barrier
	s_barrier
	s_branch .LBB32_6
.LBB32_5:                               ;   in Loop: Header=BB32_6 Depth=2
	v_lshlrev_b32_e32 v0, 2, v5
	v_lshlrev_b32_e32 v1, 2, v4
	s_delay_alu instid0(VALU_DEP_3)
	v_lshlrev_b32_e32 v2, 2, v3
	s_barrier
	buffer_gl0_inv
	ds_store_b32 v0, v31
	ds_store_b32 v1, v33
	;; [unrolled: 1-line block ×3, first 2 shown]
	s_waitcnt lgkmcnt(0)
	s_barrier
	buffer_gl0_inv
	ds_load_2addr_b32 v[0:1], v24 offset1:32
	ds_load_b32 v2, v24 offset:256
	s_add_i32 s17, s17, 8
	s_waitcnt lgkmcnt(0)
	s_barrier
	s_cbranch_execz .LBB32_20
.LBB32_6:                               ;   Parent Loop BB32_2 Depth=1
                                        ; =>  This Inner Loop Header: Depth=2
	v_mov_b32_e32 v31, v0
	buffer_gl0_inv
	ds_store_2addr_b64 v9, v[11:12], v[13:14] offset0:4 offset1:5
	ds_store_2addr_b64 v17, v[11:12], v[13:14] offset0:2 offset1:3
	s_waitcnt lgkmcnt(0)
	s_barrier
	v_lshrrev_b32_e32 v3, s17, v31
	buffer_gl0_inv
	; wave barrier
	v_lshlrev_b32_e32 v6, 29, v3
	v_bfe_u32 v0, v31, s17, 1
	v_lshlrev_b32_e32 v5, 30, v3
	v_lshlrev_b32_e32 v7, 28, v3
	v_lshlrev_b32_e32 v32, 27, v3
	v_lshlrev_b32_e32 v33, 26, v3
	v_add_co_u32 v0, s15, v0, -1
	s_delay_alu instid0(VALU_DEP_1) | instskip(SKIP_3) | instid1(VALU_DEP_4)
	v_cndmask_b32_e64 v4, 0, 1, s15
	v_cmp_gt_i32_e64 s15, 0, v5
	v_lshlrev_b32_e32 v34, 25, v3
	v_lshlrev_b32_e32 v3, 24, v3
	v_cmp_ne_u32_e32 vcc_lo, 0, v4
	v_not_b32_e32 v4, v5
	v_not_b32_e32 v5, v6
	v_xor_b32_e32 v0, vcc_lo, v0
	s_delay_alu instid0(VALU_DEP_3)
	v_ashrrev_i32_e32 v4, 31, v4
	v_cmp_gt_i32_e32 vcc_lo, 0, v6
	v_not_b32_e32 v6, v7
	v_ashrrev_i32_e32 v5, 31, v5
	v_and_b32_e32 v0, exec_lo, v0
	v_xor_b32_e32 v4, s15, v4
	v_cmp_gt_i32_e64 s15, 0, v7
	v_ashrrev_i32_e32 v6, 31, v6
	v_xor_b32_e32 v5, vcc_lo, v5
	s_delay_alu instid0(VALU_DEP_4) | instskip(SKIP_1) | instid1(VALU_DEP_4)
	v_and_b32_e32 v0, v0, v4
	v_not_b32_e32 v4, v33
	v_xor_b32_e32 v6, s15, v6
	v_cmp_gt_i32_e64 s15, 0, v33
	v_mov_b32_e32 v33, v1
	v_not_b32_e32 v7, v32
	v_cmp_gt_i32_e32 vcc_lo, 0, v32
	v_and_b32_e32 v0, v0, v5
	v_not_b32_e32 v5, v34
	v_ashrrev_i32_e32 v4, 31, v4
	v_ashrrev_i32_e32 v7, 31, v7
	v_bfe_u32 v1, v31, s17, 8
	v_and_b32_e32 v0, v0, v6
	v_not_b32_e32 v6, v3
	v_ashrrev_i32_e32 v5, 31, v5
	v_xor_b32_e32 v7, vcc_lo, v7
	v_cmp_gt_i32_e32 vcc_lo, 0, v34
	v_xor_b32_e32 v4, s15, v4
	v_cmp_gt_i32_e64 s15, 0, v3
	v_ashrrev_i32_e32 v3, 31, v6
	v_and_b32_e32 v0, v0, v7
	v_xor_b32_e32 v5, vcc_lo, v5
	v_lshl_add_u32 v1, v1, 3, v18
	v_mov_b32_e32 v32, v2
	v_xor_b32_e32 v3, s15, v3
	v_and_b32_e32 v0, v0, v4
	s_delay_alu instid0(VALU_DEP_4) | instskip(NEXT) | instid1(VALU_DEP_2)
	v_lshl_add_u32 v35, v1, 2, 32
	v_and_b32_e32 v0, v0, v5
	s_delay_alu instid0(VALU_DEP_1) | instskip(NEXT) | instid1(VALU_DEP_1)
	v_and_b32_e32 v0, v0, v3
	v_mbcnt_lo_u32_b32 v34, v0, 0
	v_cmp_ne_u32_e64 s15, 0, v0
	s_delay_alu instid0(VALU_DEP_2) | instskip(NEXT) | instid1(VALU_DEP_2)
	v_cmp_eq_u32_e32 vcc_lo, 0, v34
	s_and_b32 s20, s15, vcc_lo
	s_delay_alu instid0(SALU_CYCLE_1)
	s_and_saveexec_b32 s15, s20
	s_cbranch_execz .LBB32_8
; %bb.7:                                ;   in Loop: Header=BB32_6 Depth=2
	v_bcnt_u32_b32 v0, v0, 0
	ds_store_b32 v35, v0
.LBB32_8:                               ;   in Loop: Header=BB32_6 Depth=2
	s_or_b32 exec_lo, exec_lo, s15
	v_bfe_u32 v0, v33, s17, 1
	v_lshrrev_b32_e32 v1, s17, v33
	; wave barrier
	s_delay_alu instid0(VALU_DEP_2) | instskip(NEXT) | instid1(VALU_DEP_1)
	v_add_co_u32 v0, s15, v0, -1
	v_cndmask_b32_e64 v2, 0, 1, s15
	s_delay_alu instid0(VALU_DEP_3)
	v_lshlrev_b32_e32 v3, 30, v1
	v_lshlrev_b32_e32 v4, 29, v1
	;; [unrolled: 1-line block ×4, first 2 shown]
	v_cmp_ne_u32_e32 vcc_lo, 0, v2
	v_not_b32_e32 v2, v3
	v_cmp_gt_i32_e64 s15, 0, v3
	v_not_b32_e32 v3, v4
	v_lshlrev_b32_e32 v7, 26, v1
	v_xor_b32_e32 v0, vcc_lo, v0
	v_ashrrev_i32_e32 v2, 31, v2
	v_cmp_gt_i32_e32 vcc_lo, 0, v4
	v_not_b32_e32 v4, v5
	v_ashrrev_i32_e32 v3, 31, v3
	v_and_b32_e32 v0, exec_lo, v0
	v_xor_b32_e32 v2, s15, v2
	v_cmp_gt_i32_e64 s15, 0, v5
	v_not_b32_e32 v5, v6
	v_ashrrev_i32_e32 v4, 31, v4
	v_xor_b32_e32 v3, vcc_lo, v3
	v_and_b32_e32 v0, v0, v2
	v_cmp_gt_i32_e32 vcc_lo, 0, v6
	v_not_b32_e32 v2, v7
	v_ashrrev_i32_e32 v5, 31, v5
	v_xor_b32_e32 v4, s15, v4
	v_and_b32_e32 v0, v0, v3
	v_lshlrev_b32_e32 v3, 25, v1
	v_cmp_gt_i32_e64 s15, 0, v7
	v_ashrrev_i32_e32 v2, 31, v2
	v_xor_b32_e32 v5, vcc_lo, v5
	v_and_b32_e32 v0, v0, v4
	v_not_b32_e32 v6, v3
	v_lshlrev_b32_e32 v1, 24, v1
	v_bfe_u32 v4, v33, s17, 8
	v_xor_b32_e32 v2, s15, v2
	v_and_b32_e32 v0, v0, v5
	v_cmp_gt_i32_e32 vcc_lo, 0, v3
	v_ashrrev_i32_e32 v3, 31, v6
	v_not_b32_e32 v5, v1
	v_lshlrev_b32_e32 v4, 3, v4
	v_and_b32_e32 v0, v0, v2
	s_delay_alu instid0(VALU_DEP_4) | instskip(SKIP_3) | instid1(VALU_DEP_4)
	v_xor_b32_e32 v2, vcc_lo, v3
	v_cmp_gt_i32_e32 vcc_lo, 0, v1
	v_ashrrev_i32_e32 v1, 31, v5
	v_add_lshl_u32 v3, v4, v18, 2
	v_and_b32_e32 v0, v0, v2
	s_delay_alu instid0(VALU_DEP_3) | instskip(SKIP_3) | instid1(VALU_DEP_1)
	v_xor_b32_e32 v1, vcc_lo, v1
	ds_load_b32 v36, v3 offset:32
	v_add_nc_u32_e32 v38, 32, v3
	; wave barrier
	v_and_b32_e32 v0, v0, v1
	v_mbcnt_lo_u32_b32 v37, v0, 0
	v_cmp_ne_u32_e64 s15, 0, v0
	s_delay_alu instid0(VALU_DEP_2) | instskip(NEXT) | instid1(VALU_DEP_2)
	v_cmp_eq_u32_e32 vcc_lo, 0, v37
	s_and_b32 s20, s15, vcc_lo
	s_delay_alu instid0(SALU_CYCLE_1)
	s_and_saveexec_b32 s15, s20
	s_cbranch_execz .LBB32_10
; %bb.9:                                ;   in Loop: Header=BB32_6 Depth=2
	s_waitcnt lgkmcnt(0)
	v_bcnt_u32_b32 v0, v0, v36
	ds_store_b32 v38, v0
.LBB32_10:                              ;   in Loop: Header=BB32_6 Depth=2
	s_or_b32 exec_lo, exec_lo, s15
	v_bfe_u32 v0, v32, s17, 1
	v_lshrrev_b32_e32 v1, s17, v32
	; wave barrier
	s_delay_alu instid0(VALU_DEP_2) | instskip(NEXT) | instid1(VALU_DEP_1)
	v_add_co_u32 v0, s15, v0, -1
	v_cndmask_b32_e64 v2, 0, 1, s15
	s_delay_alu instid0(VALU_DEP_3)
	v_lshlrev_b32_e32 v3, 30, v1
	v_lshlrev_b32_e32 v4, 29, v1
	;; [unrolled: 1-line block ×4, first 2 shown]
	v_cmp_ne_u32_e32 vcc_lo, 0, v2
	v_not_b32_e32 v2, v3
	v_cmp_gt_i32_e64 s15, 0, v3
	v_not_b32_e32 v3, v4
	v_lshlrev_b32_e32 v7, 26, v1
	v_xor_b32_e32 v0, vcc_lo, v0
	v_ashrrev_i32_e32 v2, 31, v2
	v_cmp_gt_i32_e32 vcc_lo, 0, v4
	v_not_b32_e32 v4, v5
	v_ashrrev_i32_e32 v3, 31, v3
	v_and_b32_e32 v0, exec_lo, v0
	v_xor_b32_e32 v2, s15, v2
	v_cmp_gt_i32_e64 s15, 0, v5
	v_not_b32_e32 v5, v6
	v_ashrrev_i32_e32 v4, 31, v4
	v_xor_b32_e32 v3, vcc_lo, v3
	v_and_b32_e32 v0, v0, v2
	v_cmp_gt_i32_e32 vcc_lo, 0, v6
	v_not_b32_e32 v2, v7
	v_ashrrev_i32_e32 v5, 31, v5
	v_xor_b32_e32 v4, s15, v4
	v_and_b32_e32 v0, v0, v3
	v_lshlrev_b32_e32 v3, 25, v1
	v_cmp_gt_i32_e64 s15, 0, v7
	v_ashrrev_i32_e32 v2, 31, v2
	v_xor_b32_e32 v5, vcc_lo, v5
	v_and_b32_e32 v0, v0, v4
	v_not_b32_e32 v6, v3
	v_lshlrev_b32_e32 v1, 24, v1
	v_bfe_u32 v4, v32, s17, 8
	v_xor_b32_e32 v2, s15, v2
	v_and_b32_e32 v0, v0, v5
	v_cmp_gt_i32_e32 vcc_lo, 0, v3
	v_ashrrev_i32_e32 v3, 31, v6
	v_not_b32_e32 v5, v1
	v_lshlrev_b32_e32 v4, 3, v4
	v_and_b32_e32 v0, v0, v2
	s_delay_alu instid0(VALU_DEP_4) | instskip(SKIP_3) | instid1(VALU_DEP_4)
	v_xor_b32_e32 v2, vcc_lo, v3
	v_cmp_gt_i32_e32 vcc_lo, 0, v1
	v_ashrrev_i32_e32 v1, 31, v5
	v_add_lshl_u32 v3, v4, v18, 2
	v_and_b32_e32 v0, v0, v2
	s_delay_alu instid0(VALU_DEP_3) | instskip(SKIP_3) | instid1(VALU_DEP_1)
	v_xor_b32_e32 v1, vcc_lo, v1
	ds_load_b32 v39, v3 offset:32
	v_add_nc_u32_e32 v41, 32, v3
	; wave barrier
	v_and_b32_e32 v0, v0, v1
	v_mbcnt_lo_u32_b32 v40, v0, 0
	v_cmp_ne_u32_e64 s15, 0, v0
	s_delay_alu instid0(VALU_DEP_2) | instskip(NEXT) | instid1(VALU_DEP_2)
	v_cmp_eq_u32_e32 vcc_lo, 0, v40
	s_and_b32 s20, s15, vcc_lo
	s_delay_alu instid0(SALU_CYCLE_1)
	s_and_saveexec_b32 s15, s20
	s_cbranch_execz .LBB32_12
; %bb.11:                               ;   in Loop: Header=BB32_6 Depth=2
	s_waitcnt lgkmcnt(0)
	v_bcnt_u32_b32 v0, v0, v39
	ds_store_b32 v41, v0
.LBB32_12:                              ;   in Loop: Header=BB32_6 Depth=2
	s_or_b32 exec_lo, exec_lo, s15
	; wave barrier
	s_waitcnt lgkmcnt(0)
	s_barrier
	buffer_gl0_inv
	ds_load_2addr_b64 v[4:7], v9 offset0:4 offset1:5
	ds_load_2addr_b64 v[0:3], v17 offset0:2 offset1:3
	s_waitcnt lgkmcnt(1)
	v_add_nc_u32_e32 v42, v5, v4
	s_delay_alu instid0(VALU_DEP_1) | instskip(SKIP_1) | instid1(VALU_DEP_1)
	v_add3_u32 v42, v42, v6, v7
	s_waitcnt lgkmcnt(0)
	v_add3_u32 v42, v42, v0, v1
	s_delay_alu instid0(VALU_DEP_1) | instskip(NEXT) | instid1(VALU_DEP_1)
	v_add3_u32 v3, v42, v2, v3
	v_mov_b32_dpp v42, v3 row_shr:1 row_mask:0xf bank_mask:0xf
	s_delay_alu instid0(VALU_DEP_1) | instskip(NEXT) | instid1(VALU_DEP_1)
	v_cndmask_b32_e64 v42, v42, 0, s1
	v_add_nc_u32_e32 v3, v42, v3
	s_delay_alu instid0(VALU_DEP_1) | instskip(NEXT) | instid1(VALU_DEP_1)
	v_mov_b32_dpp v42, v3 row_shr:2 row_mask:0xf bank_mask:0xf
	v_cndmask_b32_e64 v42, 0, v42, s2
	s_delay_alu instid0(VALU_DEP_1) | instskip(NEXT) | instid1(VALU_DEP_1)
	v_add_nc_u32_e32 v3, v3, v42
	v_mov_b32_dpp v42, v3 row_shr:4 row_mask:0xf bank_mask:0xf
	s_delay_alu instid0(VALU_DEP_1) | instskip(NEXT) | instid1(VALU_DEP_1)
	v_cndmask_b32_e64 v42, 0, v42, s3
	v_add_nc_u32_e32 v3, v3, v42
	s_delay_alu instid0(VALU_DEP_1) | instskip(NEXT) | instid1(VALU_DEP_1)
	v_mov_b32_dpp v42, v3 row_shr:8 row_mask:0xf bank_mask:0xf
	v_cndmask_b32_e64 v42, 0, v42, s4
	s_delay_alu instid0(VALU_DEP_1) | instskip(SKIP_3) | instid1(VALU_DEP_1)
	v_add_nc_u32_e32 v3, v3, v42
	ds_swizzle_b32 v42, v3 offset:swizzle(BROADCAST,32,15)
	s_waitcnt lgkmcnt(0)
	v_cndmask_b32_e64 v42, v42, 0, s5
	v_add_nc_u32_e32 v3, v3, v42
	s_and_saveexec_b32 s15, s6
	s_cbranch_execz .LBB32_14
; %bb.13:                               ;   in Loop: Header=BB32_6 Depth=2
	ds_store_b32 v21, v3
.LBB32_14:                              ;   in Loop: Header=BB32_6 Depth=2
	s_or_b32 exec_lo, exec_lo, s15
	s_waitcnt lgkmcnt(0)
	s_barrier
	buffer_gl0_inv
	s_and_saveexec_b32 s15, s7
	s_cbranch_execz .LBB32_16
; %bb.15:                               ;   in Loop: Header=BB32_6 Depth=2
	ds_load_b32 v42, v22
	s_waitcnt lgkmcnt(0)
	v_mov_b32_dpp v43, v42 row_shr:1 row_mask:0xf bank_mask:0xf
	s_delay_alu instid0(VALU_DEP_1) | instskip(NEXT) | instid1(VALU_DEP_1)
	v_cndmask_b32_e64 v43, v43, 0, s12
	v_add_nc_u32_e32 v42, v43, v42
	s_delay_alu instid0(VALU_DEP_1) | instskip(NEXT) | instid1(VALU_DEP_1)
	v_mov_b32_dpp v43, v42 row_shr:2 row_mask:0xf bank_mask:0xf
	v_cndmask_b32_e64 v43, 0, v43, s13
	s_delay_alu instid0(VALU_DEP_1) | instskip(NEXT) | instid1(VALU_DEP_1)
	v_add_nc_u32_e32 v42, v42, v43
	v_mov_b32_dpp v43, v42 row_shr:4 row_mask:0xf bank_mask:0xf
	s_delay_alu instid0(VALU_DEP_1) | instskip(NEXT) | instid1(VALU_DEP_1)
	v_cndmask_b32_e64 v43, 0, v43, s14
	v_add_nc_u32_e32 v42, v42, v43
	ds_store_b32 v22, v42
.LBB32_16:                              ;   in Loop: Header=BB32_6 Depth=2
	s_or_b32 exec_lo, exec_lo, s15
	v_mov_b32_e32 v42, 0
	s_waitcnt lgkmcnt(0)
	s_barrier
	buffer_gl0_inv
	s_and_saveexec_b32 s15, s8
	s_cbranch_execz .LBB32_18
; %bb.17:                               ;   in Loop: Header=BB32_6 Depth=2
	ds_load_b32 v42, v23
.LBB32_18:                              ;   in Loop: Header=BB32_6 Depth=2
	s_or_b32 exec_lo, exec_lo, s15
	s_waitcnt lgkmcnt(0)
	v_add_nc_u32_e32 v3, v42, v3
	s_cmp_gt_u32 s17, 23
	ds_bpermute_b32 v3, v19, v3
	s_waitcnt lgkmcnt(0)
	v_cndmask_b32_e64 v3, v3, v42, s9
	s_delay_alu instid0(VALU_DEP_1) | instskip(NEXT) | instid1(VALU_DEP_1)
	v_cndmask_b32_e64 v3, v3, 0, s10
	v_add_nc_u32_e32 v4, v3, v4
	s_delay_alu instid0(VALU_DEP_1) | instskip(NEXT) | instid1(VALU_DEP_1)
	v_add_nc_u32_e32 v5, v4, v5
	v_add_nc_u32_e32 v6, v5, v6
	s_delay_alu instid0(VALU_DEP_1) | instskip(NEXT) | instid1(VALU_DEP_1)
	v_add_nc_u32_e32 v42, v6, v7
	;; [unrolled: 3-line block ×3, first 2 shown]
	v_add_nc_u32_e32 v1, v0, v2
	ds_store_2addr_b64 v9, v[3:4], v[5:6] offset0:4 offset1:5
	ds_store_2addr_b64 v17, v[42:43], v[0:1] offset0:2 offset1:3
	s_waitcnt lgkmcnt(0)
	s_barrier
	buffer_gl0_inv
	ds_load_b32 v0, v35
	ds_load_b32 v1, v38
	;; [unrolled: 1-line block ×3, first 2 shown]
	s_waitcnt lgkmcnt(2)
	v_add_nc_u32_e32 v5, v0, v34
	s_waitcnt lgkmcnt(1)
	v_add3_u32 v4, v37, v36, v1
	s_waitcnt lgkmcnt(0)
	v_add3_u32 v3, v40, v39, v2
	s_cbranch_scc0 .LBB32_5
; %bb.19:                               ;   in Loop: Header=BB32_2 Depth=1
                                        ; implicit-def: $vgpr2
                                        ; implicit-def: $vgpr1
                                        ; implicit-def: $sgpr17
.LBB32_20:                              ;   in Loop: Header=BB32_2 Depth=1
	v_lshlrev_b32_e32 v0, 2, v5
	v_lshlrev_b32_e32 v1, 2, v4
	s_delay_alu instid0(VALU_DEP_3)
	v_lshlrev_b32_e32 v2, 2, v3
	s_barrier
	buffer_gl0_inv
	ds_store_b32 v0, v31
	ds_store_b32 v1, v33
	;; [unrolled: 1-line block ×3, first 2 shown]
	s_waitcnt lgkmcnt(0)
	s_barrier
	buffer_gl0_inv
	ds_load_2addr_b32 v[0:1], v26 offset1:1
	ds_load_b32 v4, v26 offset:8
	s_waitcnt lgkmcnt(0)
	s_barrier
	buffer_gl0_inv
	s_and_saveexec_b32 s15, s0
	s_cbranch_execz .LBB32_22
; %bb.21:                               ;   in Loop: Header=BB32_2 Depth=1
	ds_store_2addr_stride64_b32 v22, v30, v30 offset0:8 offset1:12
.LBB32_22:                              ;   in Loop: Header=BB32_2 Depth=1
	s_or_b32 exec_lo, exec_lo, s15
	v_xor_b32_e32 v3, 0x80000000, v4
	v_xor_b32_e32 v2, 0x80000000, v1
	v_cmp_ne_u32_e32 vcc_lo, v1, v4
	s_waitcnt lgkmcnt(0)
	s_barrier
	v_mov_b32_e32 v4, v3
	buffer_gl0_inv
	ds_store_b32 v22, v3
	s_and_saveexec_b32 s15, vcc_lo
	s_cbranch_execz .LBB32_24
; %bb.23:                               ;   in Loop: Header=BB32_2 Depth=1
	v_dual_mov_b32 v4, v2 :: v_dual_lshlrev_b32 v1, 2, v3
	v_lshlrev_b32_e32 v5, 2, v2
	ds_store_b32 v1, v28 offset:2048
	ds_store_b32 v5, v28 offset:3072
.LBB32_24:                              ;   in Loop: Header=BB32_2 Depth=1
	s_or_b32 exec_lo, exec_lo, s15
	v_xor_b32_e32 v1, 0x80000000, v0
	s_mov_b32 s15, exec_lo
	s_delay_alu instid0(VALU_DEP_1)
	v_lshlrev_b32_e32 v0, 2, v1
	v_cmpx_ne_u32_e64 v1, v4
	s_cbranch_execz .LBB32_26
; %bb.25:                               ;   in Loop: Header=BB32_2 Depth=1
	v_lshlrev_b32_e32 v4, 2, v4
	ds_store_b32 v4, v27 offset:2048
	ds_store_b32 v0, v27 offset:3072
.LBB32_26:                              ;   in Loop: Header=BB32_2 Depth=1
	s_or_b32 exec_lo, exec_lo, s15
	s_waitcnt lgkmcnt(0)
	s_barrier
	buffer_gl0_inv
	s_and_saveexec_b32 s15, s11
	s_cbranch_execz .LBB32_29
; %bb.27:                               ;   in Loop: Header=BB32_2 Depth=1
	ds_load_b32 v4, v29
	s_waitcnt lgkmcnt(0)
	v_cmp_ne_u32_e32 vcc_lo, v4, v1
	s_and_b32 exec_lo, exec_lo, vcc_lo
	s_cbranch_execz .LBB32_29
; %bb.28:                               ;   in Loop: Header=BB32_2 Depth=1
	ds_store_b32 v0, v25 offset:2048
	ds_load_b32 v4, v29
	s_waitcnt lgkmcnt(0)
	v_lshlrev_b32_e32 v4, 2, v4
	ds_store_b32 v4, v25 offset:3072
.LBB32_29:                              ;   in Loop: Header=BB32_2 Depth=1
	s_or_b32 exec_lo, exec_lo, s15
	s_waitcnt lgkmcnt(0)
	s_barrier
	buffer_gl0_inv
	s_and_saveexec_b32 s15, s10
	s_cbranch_execz .LBB32_31
; %bb.30:                               ;   in Loop: Header=BB32_2 Depth=1
	ds_store_b32 v0, v10 offset:2048
.LBB32_31:                              ;   in Loop: Header=BB32_2 Depth=1
	s_or_b32 exec_lo, exec_lo, s15
	s_waitcnt lgkmcnt(0)
	s_barrier
	buffer_gl0_inv
	s_and_saveexec_b32 s15, s0
	s_cbranch_execz .LBB32_1
; %bb.32:                               ;   in Loop: Header=BB32_2 Depth=1
	ds_load_2addr_stride64_b32 v[4:5], v22 offset0:8 offset1:12
	ds_load_b32 v0, v20
	s_waitcnt lgkmcnt(1)
	v_sub_nc_u32_e32 v4, v5, v4
	s_waitcnt lgkmcnt(0)
	s_delay_alu instid0(VALU_DEP_1)
	v_add_nc_u32_e32 v0, v4, v0
	ds_store_b32 v20, v0
	s_branch .LBB32_1
.LBB32_33:
	s_and_saveexec_b32 s1, s0
	s_cbranch_execz .LBB32_35
; %bb.34:
	ds_load_b32 v2, v20
	v_mov_b32_e32 v9, 0
	s_delay_alu instid0(VALU_DEP_1) | instskip(NEXT) | instid1(VALU_DEP_1)
	v_lshlrev_b64 v[0:1], 2, v[8:9]
	v_add_co_u32 v0, vcc_lo, s18, v0
	s_delay_alu instid0(VALU_DEP_2)
	v_add_co_ci_u32_e32 v1, vcc_lo, s19, v1, vcc_lo
	s_waitcnt lgkmcnt(0)
	global_store_b32 v[0:1], v2, off
.LBB32_35:
	s_nop 0
	s_sendmsg sendmsg(MSG_DEALLOC_VGPRS)
	s_endpgm
	.section	.rodata,"a",@progbits
	.p2align	6, 0x0
	.amdhsa_kernel _Z6kernelI9histogramILN6hipcub23BlockHistogramAlgorithmE1EEiLj256ELj3ELj256ELj100EEvPKT0_PS4_
		.amdhsa_group_segment_fixed_size 9248
		.amdhsa_private_segment_fixed_size 0
		.amdhsa_kernarg_size 272
		.amdhsa_user_sgpr_count 15
		.amdhsa_user_sgpr_dispatch_ptr 0
		.amdhsa_user_sgpr_queue_ptr 0
		.amdhsa_user_sgpr_kernarg_segment_ptr 1
		.amdhsa_user_sgpr_dispatch_id 0
		.amdhsa_user_sgpr_private_segment_size 0
		.amdhsa_wavefront_size32 1
		.amdhsa_uses_dynamic_stack 0
		.amdhsa_enable_private_segment 0
		.amdhsa_system_sgpr_workgroup_id_x 1
		.amdhsa_system_sgpr_workgroup_id_y 0
		.amdhsa_system_sgpr_workgroup_id_z 0
		.amdhsa_system_sgpr_workgroup_info 0
		.amdhsa_system_vgpr_workitem_id 2
		.amdhsa_next_free_vgpr 44
		.amdhsa_next_free_sgpr 22
		.amdhsa_reserve_vcc 1
		.amdhsa_float_round_mode_32 0
		.amdhsa_float_round_mode_16_64 0
		.amdhsa_float_denorm_mode_32 3
		.amdhsa_float_denorm_mode_16_64 3
		.amdhsa_dx10_clamp 1
		.amdhsa_ieee_mode 1
		.amdhsa_fp16_overflow 0
		.amdhsa_workgroup_processor_mode 1
		.amdhsa_memory_ordered 1
		.amdhsa_forward_progress 0
		.amdhsa_shared_vgpr_count 0
		.amdhsa_exception_fp_ieee_invalid_op 0
		.amdhsa_exception_fp_denorm_src 0
		.amdhsa_exception_fp_ieee_div_zero 0
		.amdhsa_exception_fp_ieee_overflow 0
		.amdhsa_exception_fp_ieee_underflow 0
		.amdhsa_exception_fp_ieee_inexact 0
		.amdhsa_exception_int_div_zero 0
	.end_amdhsa_kernel
	.section	.text._Z6kernelI9histogramILN6hipcub23BlockHistogramAlgorithmE1EEiLj256ELj3ELj256ELj100EEvPKT0_PS4_,"axG",@progbits,_Z6kernelI9histogramILN6hipcub23BlockHistogramAlgorithmE1EEiLj256ELj3ELj256ELj100EEvPKT0_PS4_,comdat
.Lfunc_end32:
	.size	_Z6kernelI9histogramILN6hipcub23BlockHistogramAlgorithmE1EEiLj256ELj3ELj256ELj100EEvPKT0_PS4_, .Lfunc_end32-_Z6kernelI9histogramILN6hipcub23BlockHistogramAlgorithmE1EEiLj256ELj3ELj256ELj100EEvPKT0_PS4_
                                        ; -- End function
	.section	.AMDGPU.csdata,"",@progbits
; Kernel info:
; codeLenInByte = 2948
; NumSgprs: 24
; NumVgprs: 44
; ScratchSize: 0
; MemoryBound: 0
; FloatMode: 240
; IeeeMode: 1
; LDSByteSize: 9248 bytes/workgroup (compile time only)
; SGPRBlocks: 2
; VGPRBlocks: 5
; NumSGPRsForWavesPerEU: 24
; NumVGPRsForWavesPerEU: 44
; Occupancy: 16
; WaveLimiterHint : 0
; COMPUTE_PGM_RSRC2:SCRATCH_EN: 0
; COMPUTE_PGM_RSRC2:USER_SGPR: 15
; COMPUTE_PGM_RSRC2:TRAP_HANDLER: 0
; COMPUTE_PGM_RSRC2:TGID_X_EN: 1
; COMPUTE_PGM_RSRC2:TGID_Y_EN: 0
; COMPUTE_PGM_RSRC2:TGID_Z_EN: 0
; COMPUTE_PGM_RSRC2:TIDIG_COMP_CNT: 2
	.section	.text._Z6kernelI9histogramILN6hipcub23BlockHistogramAlgorithmE1EEiLj256ELj4ELj256ELj100EEvPKT0_PS4_,"axG",@progbits,_Z6kernelI9histogramILN6hipcub23BlockHistogramAlgorithmE1EEiLj256ELj4ELj256ELj100EEvPKT0_PS4_,comdat
	.protected	_Z6kernelI9histogramILN6hipcub23BlockHistogramAlgorithmE1EEiLj256ELj4ELj256ELj100EEvPKT0_PS4_ ; -- Begin function _Z6kernelI9histogramILN6hipcub23BlockHistogramAlgorithmE1EEiLj256ELj4ELj256ELj100EEvPKT0_PS4_
	.globl	_Z6kernelI9histogramILN6hipcub23BlockHistogramAlgorithmE1EEiLj256ELj4ELj256ELj100EEvPKT0_PS4_
	.p2align	8
	.type	_Z6kernelI9histogramILN6hipcub23BlockHistogramAlgorithmE1EEiLj256ELj4ELj256ELj100EEvPKT0_PS4_,@function
_Z6kernelI9histogramILN6hipcub23BlockHistogramAlgorithmE1EEiLj256ELj4ELj256ELj100EEvPKT0_PS4_: ; @_Z6kernelI9histogramILN6hipcub23BlockHistogramAlgorithmE1EEiLj256ELj4ELj256ELj100EEvPKT0_PS4_
; %bb.0:
	v_mbcnt_lo_u32_b32 v7, -1, 0
	v_and_b32_e32 v9, 0x3ff, v0
	s_clause 0x1
	s_load_b128 s[20:23], s[0:1], 0x0
	s_load_b32 s3, s[0:1], 0x1c
	v_bfe_u32 v5, v0, 10, 10
	v_dual_mov_b32 v11, 0 :: v_dual_lshlrev_b32 v16, 2, v9
	v_bfe_u32 v0, v0, 20, 10
	v_cmp_eq_u32_e64 s12, 0, v7
	v_mov_b32_e32 v35, 0x400
	s_delay_alu instid0(VALU_DEP_4)
	v_lshl_or_b32 v10, s15, 10, v16
	v_or_b32_e32 v31, 1, v16
	v_or_b32_e32 v32, 2, v16
	;; [unrolled: 1-line block ×3, first 2 shown]
	v_add_nc_u32_e32 v26, 0x2020, v16
	v_lshlrev_b64 v[1:2], 2, v[10:11]
	s_waitcnt lgkmcnt(0)
	s_delay_alu instid0(VALU_DEP_1) | instskip(NEXT) | instid1(VALU_DEP_2)
	v_add_co_u32 v1, vcc_lo, s20, v1
	v_add_co_ci_u32_e32 v2, vcc_lo, s21, v2, vcc_lo
	s_mov_b32 s20, 0
	s_lshr_b32 s2, s3, 16
	s_mov_b32 s24, s20
	global_load_b128 v[1:4], v[1:2], off
	v_mad_u32_u24 v0, v0, s2, v5
	s_mov_b32 s25, s20
	v_and_b32_e32 v10, 28, v7
	s_and_b32 s3, s3, 0xffff
	v_dual_mov_b32 v14, s24 :: v_dual_mov_b32 v15, s25
	s_mov_b32 s21, s20
	s_delay_alu instid0(VALU_DEP_2)
	v_mad_u64_u32 v[5:6], null, v0, s3, v[9:10]
	v_and_b32_e32 v0, 15, v7
	v_and_b32_e32 v8, 3, v7
	v_and_b32_e32 v6, 16, v7
	v_or_b32_e32 v18, 32, v10
	v_or_b32_e32 v19, 64, v10
	v_cmp_eq_u32_e64 s4, 0, v0
	v_lshrrev_b32_e32 v22, 5, v5
	v_add_nc_u32_e32 v5, -1, v7
	v_cmp_lt_u32_e64 s5, 1, v0
	v_cmp_lt_u32_e64 s6, 3, v0
	;; [unrolled: 1-line block ×3, first 2 shown]
	v_dual_mov_b32 v12, s20 :: v_dual_mov_b32 v13, s21
	v_cmp_gt_i32_e32 vcc_lo, 0, v5
	v_cmp_eq_u32_e64 s1, 3, v8
	v_cmp_eq_u32_e64 s2, 2, v8
	;; [unrolled: 1-line block ×3, first 2 shown]
	v_or_b32_e32 v20, 0x60, v10
	v_dual_cndmask_b32 v0, v5, v7 :: v_dual_lshlrev_b32 v17, 5, v9
	v_or_b32_e32 v8, 31, v9
	v_and_b32_e32 v5, 7, v7
	v_cmp_gt_u32_e64 s0, 0x100, v9
	s_delay_alu instid0(VALU_DEP_4)
	v_lshlrev_b32_e32 v23, 2, v0
	v_mad_i32_i24 v24, 0xffffffe4, v9, v17
	v_lshrrev_b32_e32 v0, 3, v9
	v_add_nc_u32_e32 v21, 32, v17
	v_cmp_eq_u32_e64 s8, 0, v6
	v_cmp_eq_u32_e64 s9, v8, v9
	v_mad_u32_u24 v27, v9, 12, v24
	v_and_b32_e32 v25, 28, v0
	v_and_or_b32 v0, 0x380, v16, v7
	v_cmp_gt_u32_e64 s10, 8, v9
	v_cmp_lt_u32_e64 s11, 31, v9
	v_mad_i32_i24 v30, v9, -12, v27
	v_cmp_eq_u32_e64 s13, 0, v9
	v_cmp_ne_u32_e64 s14, 0, v9
	v_cmp_eq_u32_e64 s16, 0, v5
	v_cmp_lt_u32_e64 s17, 1, v5
	v_cmp_lt_u32_e64 s18, 3, v5
	v_add_nc_u32_e32 v28, -4, v25
	v_lshlrev_b32_e32 v29, 2, v0
	v_add_nc_u32_e32 v34, -4, v30
	s_branch .LBB33_2
.LBB33_1:                               ;   in Loop: Header=BB33_2 Depth=1
	s_or_b32 exec_lo, exec_lo, s19
	s_add_i32 s20, s20, 1
	s_delay_alu instid0(SALU_CYCLE_1)
	s_cmpk_eq_i32 s20, 0x64
	s_cbranch_scc1 .LBB33_37
.LBB33_2:                               ; =>This Loop Header: Depth=1
                                        ;     Child Loop BB33_6 Depth 2
	s_and_saveexec_b32 s19, s0
	s_cbranch_execz .LBB33_4
; %bb.3:                                ;   in Loop: Header=BB33_2 Depth=1
	ds_store_b32 v26, v11
.LBB33_4:                               ;   in Loop: Header=BB33_2 Depth=1
	s_or_b32 exec_lo, exec_lo, s19
	s_waitcnt vmcnt(0)
	v_xor_b32_e32 v0, 0x80000000, v1
	v_xor_b32_e32 v1, 0x80000000, v2
	v_xor_b32_e32 v2, 0x80000000, v3
	v_xor_b32_e32 v4, 0x80000000, v4
	s_mov_b32 s21, 0
	ds_bpermute_b32 v3, v10, v0
	ds_bpermute_b32 v5, v10, v1
	;; [unrolled: 1-line block ×16, first 2 shown]
	s_waitcnt lgkmcnt(0)
	s_barrier
	buffer_gl0_inv
	s_barrier
	v_cndmask_b32_e64 v3, v3, v5, s3
	v_cndmask_b32_e64 v5, v6, v7, s3
	;; [unrolled: 1-line block ×4, first 2 shown]
	s_delay_alu instid0(VALU_DEP_4) | instskip(NEXT) | instid1(VALU_DEP_4)
	v_cndmask_b32_e64 v1, v3, v37, s2
	v_cndmask_b32_e64 v3, v5, v38, s2
	s_delay_alu instid0(VALU_DEP_4) | instskip(NEXT) | instid1(VALU_DEP_4)
	v_cndmask_b32_e64 v5, v6, v39, s2
	v_cndmask_b32_e64 v6, v0, v2, s2
	;; [unrolled: 3-line block ×4, first 2 shown]
	s_branch .LBB33_6
.LBB33_5:                               ;   in Loop: Header=BB33_6 Depth=2
	v_lshlrev_b32_e32 v0, 2, v7
	v_lshlrev_b32_e32 v1, 2, v6
	;; [unrolled: 1-line block ×4, first 2 shown]
	s_barrier
	buffer_gl0_inv
	ds_store_b32 v0, v8
	ds_store_b32 v1, v38
	;; [unrolled: 1-line block ×4, first 2 shown]
	s_waitcnt lgkmcnt(0)
	s_barrier
	buffer_gl0_inv
	ds_load_2addr_b32 v[0:1], v29 offset1:32
	ds_load_2addr_b32 v[2:3], v29 offset0:64 offset1:96
	s_add_i32 s21, s21, 8
	s_waitcnt lgkmcnt(0)
	s_barrier
	s_cbranch_execz .LBB33_22
.LBB33_6:                               ;   Parent Loop BB33_2 Depth=1
                                        ; =>  This Inner Loop Header: Depth=2
	v_mov_b32_e32 v8, v0
	buffer_gl0_inv
	ds_store_2addr_b64 v17, v[12:13], v[14:15] offset0:4 offset1:5
	ds_store_2addr_b64 v21, v[12:13], v[14:15] offset0:2 offset1:3
	s_waitcnt lgkmcnt(0)
	s_barrier
	v_lshrrev_b32_e32 v4, s21, v8
	buffer_gl0_inv
	; wave barrier
	v_lshlrev_b32_e32 v7, 29, v4
	v_bfe_u32 v0, v8, s21, 1
	v_lshlrev_b32_e32 v6, 30, v4
	v_lshlrev_b32_e32 v36, 28, v4
	;; [unrolled: 1-line block ×4, first 2 shown]
	v_add_co_u32 v0, s19, v0, -1
	s_delay_alu instid0(VALU_DEP_1) | instskip(SKIP_3) | instid1(VALU_DEP_4)
	v_cndmask_b32_e64 v5, 0, 1, s19
	v_cmp_gt_i32_e64 s19, 0, v6
	v_lshlrev_b32_e32 v39, 25, v4
	v_lshlrev_b32_e32 v4, 24, v4
	v_cmp_ne_u32_e32 vcc_lo, 0, v5
	v_not_b32_e32 v5, v6
	v_not_b32_e32 v6, v7
	v_xor_b32_e32 v0, vcc_lo, v0
	s_delay_alu instid0(VALU_DEP_3)
	v_ashrrev_i32_e32 v5, 31, v5
	v_cmp_gt_i32_e32 vcc_lo, 0, v7
	v_not_b32_e32 v7, v36
	v_ashrrev_i32_e32 v6, 31, v6
	v_and_b32_e32 v0, exec_lo, v0
	v_xor_b32_e32 v5, s19, v5
	v_cmp_gt_i32_e64 s19, 0, v36
	v_not_b32_e32 v36, v37
	v_ashrrev_i32_e32 v7, 31, v7
	v_xor_b32_e32 v6, vcc_lo, v6
	v_and_b32_e32 v0, v0, v5
	v_cmp_gt_i32_e32 vcc_lo, 0, v37
	v_not_b32_e32 v5, v38
	v_ashrrev_i32_e32 v36, 31, v36
	v_xor_b32_e32 v7, s19, v7
	v_and_b32_e32 v0, v0, v6
	v_cmp_gt_i32_e64 s19, 0, v38
	v_mov_b32_e32 v38, v1
	v_not_b32_e32 v6, v39
	v_ashrrev_i32_e32 v5, 31, v5
	v_xor_b32_e32 v36, vcc_lo, v36
	v_and_b32_e32 v0, v0, v7
	v_cmp_gt_i32_e32 vcc_lo, 0, v39
	v_not_b32_e32 v7, v4
	v_ashrrev_i32_e32 v6, 31, v6
	v_xor_b32_e32 v5, s19, v5
	v_and_b32_e32 v0, v0, v36
	v_cmp_gt_i32_e64 s19, 0, v4
	v_ashrrev_i32_e32 v4, 31, v7
	v_xor_b32_e32 v6, vcc_lo, v6
	v_bfe_u32 v1, v8, s21, 8
	v_and_b32_e32 v0, v0, v5
	v_mov_b32_e32 v36, v3
	v_xor_b32_e32 v4, s19, v4
	v_mov_b32_e32 v37, v2
	v_lshl_add_u32 v1, v1, 3, v22
	v_and_b32_e32 v0, v0, v6
	s_delay_alu instid0(VALU_DEP_2) | instskip(NEXT) | instid1(VALU_DEP_2)
	v_lshl_add_u32 v40, v1, 2, 32
	v_and_b32_e32 v0, v0, v4
	s_delay_alu instid0(VALU_DEP_1) | instskip(SKIP_1) | instid1(VALU_DEP_2)
	v_mbcnt_lo_u32_b32 v39, v0, 0
	v_cmp_ne_u32_e64 s19, 0, v0
	v_cmp_eq_u32_e32 vcc_lo, 0, v39
	s_delay_alu instid0(VALU_DEP_2) | instskip(NEXT) | instid1(SALU_CYCLE_1)
	s_and_b32 s24, s19, vcc_lo
	s_and_saveexec_b32 s19, s24
	s_cbranch_execz .LBB33_8
; %bb.7:                                ;   in Loop: Header=BB33_6 Depth=2
	v_bcnt_u32_b32 v0, v0, 0
	ds_store_b32 v40, v0
.LBB33_8:                               ;   in Loop: Header=BB33_6 Depth=2
	s_or_b32 exec_lo, exec_lo, s19
	v_bfe_u32 v0, v38, s21, 1
	v_lshrrev_b32_e32 v1, s21, v38
	; wave barrier
	s_delay_alu instid0(VALU_DEP_2) | instskip(NEXT) | instid1(VALU_DEP_1)
	v_add_co_u32 v0, s19, v0, -1
	v_cndmask_b32_e64 v2, 0, 1, s19
	s_delay_alu instid0(VALU_DEP_3)
	v_lshlrev_b32_e32 v3, 30, v1
	v_lshlrev_b32_e32 v4, 29, v1
	;; [unrolled: 1-line block ×4, first 2 shown]
	v_cmp_ne_u32_e32 vcc_lo, 0, v2
	v_not_b32_e32 v2, v3
	v_cmp_gt_i32_e64 s19, 0, v3
	v_not_b32_e32 v3, v4
	v_lshlrev_b32_e32 v7, 26, v1
	v_xor_b32_e32 v0, vcc_lo, v0
	v_ashrrev_i32_e32 v2, 31, v2
	v_cmp_gt_i32_e32 vcc_lo, 0, v4
	v_not_b32_e32 v4, v5
	v_ashrrev_i32_e32 v3, 31, v3
	v_and_b32_e32 v0, exec_lo, v0
	v_xor_b32_e32 v2, s19, v2
	v_cmp_gt_i32_e64 s19, 0, v5
	v_not_b32_e32 v5, v6
	v_ashrrev_i32_e32 v4, 31, v4
	v_xor_b32_e32 v3, vcc_lo, v3
	v_and_b32_e32 v0, v0, v2
	v_cmp_gt_i32_e32 vcc_lo, 0, v6
	v_not_b32_e32 v2, v7
	v_ashrrev_i32_e32 v5, 31, v5
	v_xor_b32_e32 v4, s19, v4
	v_and_b32_e32 v0, v0, v3
	v_lshlrev_b32_e32 v3, 25, v1
	v_cmp_gt_i32_e64 s19, 0, v7
	v_ashrrev_i32_e32 v2, 31, v2
	v_xor_b32_e32 v5, vcc_lo, v5
	v_and_b32_e32 v0, v0, v4
	v_not_b32_e32 v6, v3
	v_lshlrev_b32_e32 v1, 24, v1
	v_bfe_u32 v4, v38, s21, 8
	v_xor_b32_e32 v2, s19, v2
	v_and_b32_e32 v0, v0, v5
	v_cmp_gt_i32_e32 vcc_lo, 0, v3
	v_ashrrev_i32_e32 v3, 31, v6
	v_not_b32_e32 v5, v1
	v_lshlrev_b32_e32 v4, 3, v4
	v_and_b32_e32 v0, v0, v2
	s_delay_alu instid0(VALU_DEP_4) | instskip(SKIP_3) | instid1(VALU_DEP_4)
	v_xor_b32_e32 v2, vcc_lo, v3
	v_cmp_gt_i32_e32 vcc_lo, 0, v1
	v_ashrrev_i32_e32 v1, 31, v5
	v_add_lshl_u32 v3, v4, v22, 2
	v_and_b32_e32 v0, v0, v2
	s_delay_alu instid0(VALU_DEP_3) | instskip(SKIP_3) | instid1(VALU_DEP_1)
	v_xor_b32_e32 v1, vcc_lo, v1
	ds_load_b32 v41, v3 offset:32
	v_add_nc_u32_e32 v43, 32, v3
	; wave barrier
	v_and_b32_e32 v0, v0, v1
	v_mbcnt_lo_u32_b32 v42, v0, 0
	v_cmp_ne_u32_e64 s19, 0, v0
	s_delay_alu instid0(VALU_DEP_2) | instskip(NEXT) | instid1(VALU_DEP_2)
	v_cmp_eq_u32_e32 vcc_lo, 0, v42
	s_and_b32 s24, s19, vcc_lo
	s_delay_alu instid0(SALU_CYCLE_1)
	s_and_saveexec_b32 s19, s24
	s_cbranch_execz .LBB33_10
; %bb.9:                                ;   in Loop: Header=BB33_6 Depth=2
	s_waitcnt lgkmcnt(0)
	v_bcnt_u32_b32 v0, v0, v41
	ds_store_b32 v43, v0
.LBB33_10:                              ;   in Loop: Header=BB33_6 Depth=2
	s_or_b32 exec_lo, exec_lo, s19
	v_bfe_u32 v0, v37, s21, 1
	v_lshrrev_b32_e32 v1, s21, v37
	; wave barrier
	s_delay_alu instid0(VALU_DEP_2) | instskip(NEXT) | instid1(VALU_DEP_1)
	v_add_co_u32 v0, s19, v0, -1
	v_cndmask_b32_e64 v2, 0, 1, s19
	s_delay_alu instid0(VALU_DEP_3)
	v_lshlrev_b32_e32 v3, 30, v1
	v_lshlrev_b32_e32 v4, 29, v1
	;; [unrolled: 1-line block ×4, first 2 shown]
	v_cmp_ne_u32_e32 vcc_lo, 0, v2
	v_not_b32_e32 v2, v3
	v_cmp_gt_i32_e64 s19, 0, v3
	v_not_b32_e32 v3, v4
	v_lshlrev_b32_e32 v7, 26, v1
	v_xor_b32_e32 v0, vcc_lo, v0
	v_ashrrev_i32_e32 v2, 31, v2
	v_cmp_gt_i32_e32 vcc_lo, 0, v4
	v_not_b32_e32 v4, v5
	v_ashrrev_i32_e32 v3, 31, v3
	v_and_b32_e32 v0, exec_lo, v0
	v_xor_b32_e32 v2, s19, v2
	v_cmp_gt_i32_e64 s19, 0, v5
	v_not_b32_e32 v5, v6
	v_ashrrev_i32_e32 v4, 31, v4
	v_xor_b32_e32 v3, vcc_lo, v3
	v_and_b32_e32 v0, v0, v2
	v_cmp_gt_i32_e32 vcc_lo, 0, v6
	v_not_b32_e32 v2, v7
	v_ashrrev_i32_e32 v5, 31, v5
	v_xor_b32_e32 v4, s19, v4
	v_and_b32_e32 v0, v0, v3
	v_lshlrev_b32_e32 v3, 25, v1
	v_cmp_gt_i32_e64 s19, 0, v7
	v_ashrrev_i32_e32 v2, 31, v2
	v_xor_b32_e32 v5, vcc_lo, v5
	v_and_b32_e32 v0, v0, v4
	v_not_b32_e32 v6, v3
	v_lshlrev_b32_e32 v1, 24, v1
	v_bfe_u32 v4, v37, s21, 8
	v_xor_b32_e32 v2, s19, v2
	v_and_b32_e32 v0, v0, v5
	v_cmp_gt_i32_e32 vcc_lo, 0, v3
	v_ashrrev_i32_e32 v3, 31, v6
	v_not_b32_e32 v5, v1
	v_lshlrev_b32_e32 v4, 3, v4
	v_and_b32_e32 v0, v0, v2
	s_delay_alu instid0(VALU_DEP_4) | instskip(SKIP_3) | instid1(VALU_DEP_4)
	v_xor_b32_e32 v2, vcc_lo, v3
	v_cmp_gt_i32_e32 vcc_lo, 0, v1
	v_ashrrev_i32_e32 v1, 31, v5
	v_add_lshl_u32 v3, v4, v22, 2
	v_and_b32_e32 v0, v0, v2
	s_delay_alu instid0(VALU_DEP_3) | instskip(SKIP_3) | instid1(VALU_DEP_1)
	v_xor_b32_e32 v1, vcc_lo, v1
	ds_load_b32 v44, v3 offset:32
	v_add_nc_u32_e32 v46, 32, v3
	; wave barrier
	v_and_b32_e32 v0, v0, v1
	v_mbcnt_lo_u32_b32 v45, v0, 0
	v_cmp_ne_u32_e64 s19, 0, v0
	s_delay_alu instid0(VALU_DEP_2) | instskip(NEXT) | instid1(VALU_DEP_2)
	v_cmp_eq_u32_e32 vcc_lo, 0, v45
	s_and_b32 s24, s19, vcc_lo
	s_delay_alu instid0(SALU_CYCLE_1)
	s_and_saveexec_b32 s19, s24
	s_cbranch_execz .LBB33_12
; %bb.11:                               ;   in Loop: Header=BB33_6 Depth=2
	s_waitcnt lgkmcnt(0)
	v_bcnt_u32_b32 v0, v0, v44
	ds_store_b32 v46, v0
.LBB33_12:                              ;   in Loop: Header=BB33_6 Depth=2
	s_or_b32 exec_lo, exec_lo, s19
	v_bfe_u32 v0, v36, s21, 1
	v_lshrrev_b32_e32 v1, s21, v36
	; wave barrier
	s_delay_alu instid0(VALU_DEP_2) | instskip(NEXT) | instid1(VALU_DEP_1)
	v_add_co_u32 v0, s19, v0, -1
	v_cndmask_b32_e64 v2, 0, 1, s19
	s_delay_alu instid0(VALU_DEP_3)
	v_lshlrev_b32_e32 v3, 30, v1
	v_lshlrev_b32_e32 v4, 29, v1
	;; [unrolled: 1-line block ×4, first 2 shown]
	v_cmp_ne_u32_e32 vcc_lo, 0, v2
	v_not_b32_e32 v2, v3
	v_cmp_gt_i32_e64 s19, 0, v3
	v_not_b32_e32 v3, v4
	v_lshlrev_b32_e32 v7, 26, v1
	v_xor_b32_e32 v0, vcc_lo, v0
	v_ashrrev_i32_e32 v2, 31, v2
	v_cmp_gt_i32_e32 vcc_lo, 0, v4
	v_not_b32_e32 v4, v5
	v_ashrrev_i32_e32 v3, 31, v3
	v_and_b32_e32 v0, exec_lo, v0
	v_xor_b32_e32 v2, s19, v2
	v_cmp_gt_i32_e64 s19, 0, v5
	v_not_b32_e32 v5, v6
	v_ashrrev_i32_e32 v4, 31, v4
	v_xor_b32_e32 v3, vcc_lo, v3
	v_and_b32_e32 v0, v0, v2
	v_cmp_gt_i32_e32 vcc_lo, 0, v6
	v_not_b32_e32 v2, v7
	v_ashrrev_i32_e32 v5, 31, v5
	v_xor_b32_e32 v4, s19, v4
	v_and_b32_e32 v0, v0, v3
	v_lshlrev_b32_e32 v3, 25, v1
	v_cmp_gt_i32_e64 s19, 0, v7
	v_ashrrev_i32_e32 v2, 31, v2
	v_xor_b32_e32 v5, vcc_lo, v5
	v_and_b32_e32 v0, v0, v4
	v_not_b32_e32 v6, v3
	v_lshlrev_b32_e32 v1, 24, v1
	v_bfe_u32 v4, v36, s21, 8
	v_xor_b32_e32 v2, s19, v2
	v_and_b32_e32 v0, v0, v5
	v_cmp_gt_i32_e32 vcc_lo, 0, v3
	v_ashrrev_i32_e32 v3, 31, v6
	v_not_b32_e32 v5, v1
	v_lshlrev_b32_e32 v4, 3, v4
	v_and_b32_e32 v0, v0, v2
	s_delay_alu instid0(VALU_DEP_4) | instskip(SKIP_3) | instid1(VALU_DEP_4)
	v_xor_b32_e32 v2, vcc_lo, v3
	v_cmp_gt_i32_e32 vcc_lo, 0, v1
	v_ashrrev_i32_e32 v1, 31, v5
	v_add_lshl_u32 v3, v4, v22, 2
	v_and_b32_e32 v0, v0, v2
	s_delay_alu instid0(VALU_DEP_3) | instskip(SKIP_3) | instid1(VALU_DEP_1)
	v_xor_b32_e32 v1, vcc_lo, v1
	ds_load_b32 v47, v3 offset:32
	v_add_nc_u32_e32 v49, 32, v3
	; wave barrier
	v_and_b32_e32 v0, v0, v1
	v_mbcnt_lo_u32_b32 v48, v0, 0
	v_cmp_ne_u32_e64 s19, 0, v0
	s_delay_alu instid0(VALU_DEP_2) | instskip(NEXT) | instid1(VALU_DEP_2)
	v_cmp_eq_u32_e32 vcc_lo, 0, v48
	s_and_b32 s24, s19, vcc_lo
	s_delay_alu instid0(SALU_CYCLE_1)
	s_and_saveexec_b32 s19, s24
	s_cbranch_execz .LBB33_14
; %bb.13:                               ;   in Loop: Header=BB33_6 Depth=2
	s_waitcnt lgkmcnt(0)
	v_bcnt_u32_b32 v0, v0, v47
	ds_store_b32 v49, v0
.LBB33_14:                              ;   in Loop: Header=BB33_6 Depth=2
	s_or_b32 exec_lo, exec_lo, s19
	; wave barrier
	s_waitcnt lgkmcnt(0)
	s_barrier
	buffer_gl0_inv
	ds_load_2addr_b64 v[4:7], v17 offset0:4 offset1:5
	ds_load_2addr_b64 v[0:3], v21 offset0:2 offset1:3
	s_waitcnt lgkmcnt(1)
	v_add_nc_u32_e32 v50, v5, v4
	s_delay_alu instid0(VALU_DEP_1) | instskip(SKIP_1) | instid1(VALU_DEP_1)
	v_add3_u32 v50, v50, v6, v7
	s_waitcnt lgkmcnt(0)
	v_add3_u32 v50, v50, v0, v1
	s_delay_alu instid0(VALU_DEP_1) | instskip(NEXT) | instid1(VALU_DEP_1)
	v_add3_u32 v3, v50, v2, v3
	v_mov_b32_dpp v50, v3 row_shr:1 row_mask:0xf bank_mask:0xf
	s_delay_alu instid0(VALU_DEP_1) | instskip(NEXT) | instid1(VALU_DEP_1)
	v_cndmask_b32_e64 v50, v50, 0, s4
	v_add_nc_u32_e32 v3, v50, v3
	s_delay_alu instid0(VALU_DEP_1) | instskip(NEXT) | instid1(VALU_DEP_1)
	v_mov_b32_dpp v50, v3 row_shr:2 row_mask:0xf bank_mask:0xf
	v_cndmask_b32_e64 v50, 0, v50, s5
	s_delay_alu instid0(VALU_DEP_1) | instskip(NEXT) | instid1(VALU_DEP_1)
	v_add_nc_u32_e32 v3, v3, v50
	v_mov_b32_dpp v50, v3 row_shr:4 row_mask:0xf bank_mask:0xf
	s_delay_alu instid0(VALU_DEP_1) | instskip(NEXT) | instid1(VALU_DEP_1)
	v_cndmask_b32_e64 v50, 0, v50, s6
	v_add_nc_u32_e32 v3, v3, v50
	s_delay_alu instid0(VALU_DEP_1) | instskip(NEXT) | instid1(VALU_DEP_1)
	v_mov_b32_dpp v50, v3 row_shr:8 row_mask:0xf bank_mask:0xf
	v_cndmask_b32_e64 v50, 0, v50, s7
	s_delay_alu instid0(VALU_DEP_1) | instskip(SKIP_3) | instid1(VALU_DEP_1)
	v_add_nc_u32_e32 v3, v3, v50
	ds_swizzle_b32 v50, v3 offset:swizzle(BROADCAST,32,15)
	s_waitcnt lgkmcnt(0)
	v_cndmask_b32_e64 v50, v50, 0, s8
	v_add_nc_u32_e32 v3, v3, v50
	s_and_saveexec_b32 s19, s9
	s_cbranch_execz .LBB33_16
; %bb.15:                               ;   in Loop: Header=BB33_6 Depth=2
	ds_store_b32 v25, v3
.LBB33_16:                              ;   in Loop: Header=BB33_6 Depth=2
	s_or_b32 exec_lo, exec_lo, s19
	s_waitcnt lgkmcnt(0)
	s_barrier
	buffer_gl0_inv
	s_and_saveexec_b32 s19, s10
	s_cbranch_execz .LBB33_18
; %bb.17:                               ;   in Loop: Header=BB33_6 Depth=2
	ds_load_b32 v50, v24
	s_waitcnt lgkmcnt(0)
	v_mov_b32_dpp v51, v50 row_shr:1 row_mask:0xf bank_mask:0xf
	s_delay_alu instid0(VALU_DEP_1) | instskip(NEXT) | instid1(VALU_DEP_1)
	v_cndmask_b32_e64 v51, v51, 0, s16
	v_add_nc_u32_e32 v50, v51, v50
	s_delay_alu instid0(VALU_DEP_1) | instskip(NEXT) | instid1(VALU_DEP_1)
	v_mov_b32_dpp v51, v50 row_shr:2 row_mask:0xf bank_mask:0xf
	v_cndmask_b32_e64 v51, 0, v51, s17
	s_delay_alu instid0(VALU_DEP_1) | instskip(NEXT) | instid1(VALU_DEP_1)
	v_add_nc_u32_e32 v50, v50, v51
	v_mov_b32_dpp v51, v50 row_shr:4 row_mask:0xf bank_mask:0xf
	s_delay_alu instid0(VALU_DEP_1) | instskip(NEXT) | instid1(VALU_DEP_1)
	v_cndmask_b32_e64 v51, 0, v51, s18
	v_add_nc_u32_e32 v50, v50, v51
	ds_store_b32 v24, v50
.LBB33_18:                              ;   in Loop: Header=BB33_6 Depth=2
	s_or_b32 exec_lo, exec_lo, s19
	v_mov_b32_e32 v50, 0
	s_waitcnt lgkmcnt(0)
	s_barrier
	buffer_gl0_inv
	s_and_saveexec_b32 s19, s11
	s_cbranch_execz .LBB33_20
; %bb.19:                               ;   in Loop: Header=BB33_6 Depth=2
	ds_load_b32 v50, v28
.LBB33_20:                              ;   in Loop: Header=BB33_6 Depth=2
	s_or_b32 exec_lo, exec_lo, s19
	s_waitcnt lgkmcnt(0)
	v_add_nc_u32_e32 v3, v50, v3
	s_cmp_gt_u32 s21, 23
	ds_bpermute_b32 v3, v23, v3
	s_waitcnt lgkmcnt(0)
	v_cndmask_b32_e64 v3, v3, v50, s12
	s_delay_alu instid0(VALU_DEP_1) | instskip(NEXT) | instid1(VALU_DEP_1)
	v_cndmask_b32_e64 v3, v3, 0, s13
	v_add_nc_u32_e32 v4, v3, v4
	s_delay_alu instid0(VALU_DEP_1) | instskip(NEXT) | instid1(VALU_DEP_1)
	v_add_nc_u32_e32 v5, v4, v5
	v_add_nc_u32_e32 v6, v5, v6
	s_delay_alu instid0(VALU_DEP_1) | instskip(NEXT) | instid1(VALU_DEP_1)
	v_add_nc_u32_e32 v50, v6, v7
	;; [unrolled: 3-line block ×3, first 2 shown]
	v_add_nc_u32_e32 v1, v0, v2
	ds_store_2addr_b64 v17, v[3:4], v[5:6] offset0:4 offset1:5
	ds_store_2addr_b64 v21, v[50:51], v[0:1] offset0:2 offset1:3
	s_waitcnt lgkmcnt(0)
	s_barrier
	buffer_gl0_inv
	ds_load_b32 v0, v40
	ds_load_b32 v1, v43
	;; [unrolled: 1-line block ×4, first 2 shown]
	s_waitcnt lgkmcnt(3)
	v_add_nc_u32_e32 v7, v0, v39
	s_waitcnt lgkmcnt(2)
	v_add3_u32 v6, v42, v41, v1
	s_waitcnt lgkmcnt(1)
	v_add3_u32 v5, v45, v44, v2
	;; [unrolled: 2-line block ×3, first 2 shown]
	s_cbranch_scc0 .LBB33_5
; %bb.21:                               ;   in Loop: Header=BB33_2 Depth=1
                                        ; implicit-def: $vgpr3
                                        ; implicit-def: $vgpr1
                                        ; implicit-def: $sgpr21
.LBB33_22:                              ;   in Loop: Header=BB33_2 Depth=1
	v_lshlrev_b32_e32 v0, 2, v7
	v_lshlrev_b32_e32 v1, 2, v6
	v_lshlrev_b32_e32 v2, 2, v5
	v_lshlrev_b32_e32 v3, 2, v4
	s_barrier
	buffer_gl0_inv
	ds_store_b32 v0, v8
	ds_store_b32 v1, v38
	;; [unrolled: 1-line block ×4, first 2 shown]
	s_waitcnt lgkmcnt(0)
	s_barrier
	buffer_gl0_inv
	ds_load_2addr_b64 v[5:8], v27 offset1:1
	s_waitcnt lgkmcnt(0)
	s_barrier
	buffer_gl0_inv
	s_and_saveexec_b32 s19, s0
	s_cbranch_execz .LBB33_24
; %bb.23:                               ;   in Loop: Header=BB33_2 Depth=1
	ds_store_2addr_stride64_b32 v30, v35, v35 offset0:8 offset1:12
.LBB33_24:                              ;   in Loop: Header=BB33_2 Depth=1
	s_or_b32 exec_lo, exec_lo, s19
	v_xor_b32_e32 v4, 0x80000000, v8
	v_xor_b32_e32 v3, 0x80000000, v7
	s_mov_b32 s19, exec_lo
	s_waitcnt lgkmcnt(0)
	s_barrier
	v_mov_b32_e32 v0, v4
	buffer_gl0_inv
	ds_store_b32 v24, v4
	v_cmpx_ne_u32_e64 v7, v8
	s_cbranch_execz .LBB33_26
; %bb.25:                               ;   in Loop: Header=BB33_2 Depth=1
	v_dual_mov_b32 v0, v3 :: v_dual_lshlrev_b32 v1, 2, v4
	v_lshlrev_b32_e32 v2, 2, v3
	ds_store_b32 v1, v33 offset:2048
	ds_store_b32 v2, v33 offset:3072
.LBB33_26:                              ;   in Loop: Header=BB33_2 Depth=1
	s_or_b32 exec_lo, exec_lo, s19
	v_xor_b32_e32 v2, 0x80000000, v6
	s_mov_b32 s19, exec_lo
	s_delay_alu instid0(VALU_DEP_1)
	v_lshlrev_b32_e32 v7, 2, v2
	v_cmpx_ne_u32_e64 v2, v0
	s_cbranch_execz .LBB33_28
; %bb.27:                               ;   in Loop: Header=BB33_2 Depth=1
	v_lshlrev_b32_e32 v0, 2, v0
	ds_store_b32 v0, v32 offset:2048
	ds_store_b32 v7, v32 offset:3072
.LBB33_28:                              ;   in Loop: Header=BB33_2 Depth=1
	s_or_b32 exec_lo, exec_lo, s19
	v_xor_b32_e32 v1, 0x80000000, v5
	s_mov_b32 s19, exec_lo
	s_delay_alu instid0(VALU_DEP_1)
	v_lshlrev_b32_e32 v0, 2, v1
	v_cmpx_ne_u32_e64 v5, v6
	s_cbranch_execz .LBB33_30
; %bb.29:                               ;   in Loop: Header=BB33_2 Depth=1
	ds_store_b32 v7, v31 offset:2048
	ds_store_b32 v0, v31 offset:3072
.LBB33_30:                              ;   in Loop: Header=BB33_2 Depth=1
	s_or_b32 exec_lo, exec_lo, s19
	s_waitcnt lgkmcnt(0)
	s_barrier
	buffer_gl0_inv
	s_and_saveexec_b32 s19, s14
	s_cbranch_execz .LBB33_33
; %bb.31:                               ;   in Loop: Header=BB33_2 Depth=1
	ds_load_b32 v5, v34
	s_waitcnt lgkmcnt(0)
	v_cmp_ne_u32_e32 vcc_lo, v5, v1
	s_and_b32 exec_lo, exec_lo, vcc_lo
	s_cbranch_execz .LBB33_33
; %bb.32:                               ;   in Loop: Header=BB33_2 Depth=1
	ds_store_b32 v0, v16 offset:2048
	ds_load_b32 v5, v34
	s_waitcnt lgkmcnt(0)
	v_lshlrev_b32_e32 v5, 2, v5
	ds_store_b32 v5, v16 offset:3072
.LBB33_33:                              ;   in Loop: Header=BB33_2 Depth=1
	s_or_b32 exec_lo, exec_lo, s19
	s_waitcnt lgkmcnt(0)
	s_barrier
	buffer_gl0_inv
	s_and_saveexec_b32 s19, s13
	s_cbranch_execz .LBB33_35
; %bb.34:                               ;   in Loop: Header=BB33_2 Depth=1
	ds_store_b32 v0, v11 offset:2048
.LBB33_35:                              ;   in Loop: Header=BB33_2 Depth=1
	s_or_b32 exec_lo, exec_lo, s19
	s_waitcnt lgkmcnt(0)
	s_barrier
	buffer_gl0_inv
	s_and_saveexec_b32 s19, s0
	s_cbranch_execz .LBB33_1
; %bb.36:                               ;   in Loop: Header=BB33_2 Depth=1
	ds_load_2addr_stride64_b32 v[5:6], v30 offset0:8 offset1:12
	ds_load_b32 v0, v26
	s_waitcnt lgkmcnt(1)
	v_sub_nc_u32_e32 v5, v6, v5
	s_waitcnt lgkmcnt(0)
	s_delay_alu instid0(VALU_DEP_1)
	v_add_nc_u32_e32 v0, v5, v0
	ds_store_b32 v26, v0
	s_branch .LBB33_1
.LBB33_37:
	s_and_saveexec_b32 s1, s0
	s_cbranch_execz .LBB33_39
; %bb.38:
	ds_load_b32 v2, v26
	v_lshl_or_b32 v0, s15, 8, v9
	v_mov_b32_e32 v1, 0
	s_delay_alu instid0(VALU_DEP_1) | instskip(NEXT) | instid1(VALU_DEP_1)
	v_lshlrev_b64 v[0:1], 2, v[0:1]
	v_add_co_u32 v0, vcc_lo, s22, v0
	s_delay_alu instid0(VALU_DEP_2)
	v_add_co_ci_u32_e32 v1, vcc_lo, s23, v1, vcc_lo
	s_waitcnt lgkmcnt(0)
	global_store_b32 v[0:1], v2, off
.LBB33_39:
	s_nop 0
	s_sendmsg sendmsg(MSG_DEALLOC_VGPRS)
	s_endpgm
	.section	.rodata,"a",@progbits
	.p2align	6, 0x0
	.amdhsa_kernel _Z6kernelI9histogramILN6hipcub23BlockHistogramAlgorithmE1EEiLj256ELj4ELj256ELj100EEvPKT0_PS4_
		.amdhsa_group_segment_fixed_size 9248
		.amdhsa_private_segment_fixed_size 0
		.amdhsa_kernarg_size 272
		.amdhsa_user_sgpr_count 15
		.amdhsa_user_sgpr_dispatch_ptr 0
		.amdhsa_user_sgpr_queue_ptr 0
		.amdhsa_user_sgpr_kernarg_segment_ptr 1
		.amdhsa_user_sgpr_dispatch_id 0
		.amdhsa_user_sgpr_private_segment_size 0
		.amdhsa_wavefront_size32 1
		.amdhsa_uses_dynamic_stack 0
		.amdhsa_enable_private_segment 0
		.amdhsa_system_sgpr_workgroup_id_x 1
		.amdhsa_system_sgpr_workgroup_id_y 0
		.amdhsa_system_sgpr_workgroup_id_z 0
		.amdhsa_system_sgpr_workgroup_info 0
		.amdhsa_system_vgpr_workitem_id 2
		.amdhsa_next_free_vgpr 52
		.amdhsa_next_free_sgpr 26
		.amdhsa_reserve_vcc 1
		.amdhsa_float_round_mode_32 0
		.amdhsa_float_round_mode_16_64 0
		.amdhsa_float_denorm_mode_32 3
		.amdhsa_float_denorm_mode_16_64 3
		.amdhsa_dx10_clamp 1
		.amdhsa_ieee_mode 1
		.amdhsa_fp16_overflow 0
		.amdhsa_workgroup_processor_mode 1
		.amdhsa_memory_ordered 1
		.amdhsa_forward_progress 0
		.amdhsa_shared_vgpr_count 0
		.amdhsa_exception_fp_ieee_invalid_op 0
		.amdhsa_exception_fp_denorm_src 0
		.amdhsa_exception_fp_ieee_div_zero 0
		.amdhsa_exception_fp_ieee_overflow 0
		.amdhsa_exception_fp_ieee_underflow 0
		.amdhsa_exception_fp_ieee_inexact 0
		.amdhsa_exception_int_div_zero 0
	.end_amdhsa_kernel
	.section	.text._Z6kernelI9histogramILN6hipcub23BlockHistogramAlgorithmE1EEiLj256ELj4ELj256ELj100EEvPKT0_PS4_,"axG",@progbits,_Z6kernelI9histogramILN6hipcub23BlockHistogramAlgorithmE1EEiLj256ELj4ELj256ELj100EEvPKT0_PS4_,comdat
.Lfunc_end33:
	.size	_Z6kernelI9histogramILN6hipcub23BlockHistogramAlgorithmE1EEiLj256ELj4ELj256ELj100EEvPKT0_PS4_, .Lfunc_end33-_Z6kernelI9histogramILN6hipcub23BlockHistogramAlgorithmE1EEiLj256ELj4ELj256ELj100EEvPKT0_PS4_
                                        ; -- End function
	.section	.AMDGPU.csdata,"",@progbits
; Kernel info:
; codeLenInByte = 3484
; NumSgprs: 28
; NumVgprs: 52
; ScratchSize: 0
; MemoryBound: 0
; FloatMode: 240
; IeeeMode: 1
; LDSByteSize: 9248 bytes/workgroup (compile time only)
; SGPRBlocks: 3
; VGPRBlocks: 6
; NumSGPRsForWavesPerEU: 28
; NumVGPRsForWavesPerEU: 52
; Occupancy: 16
; WaveLimiterHint : 0
; COMPUTE_PGM_RSRC2:SCRATCH_EN: 0
; COMPUTE_PGM_RSRC2:USER_SGPR: 15
; COMPUTE_PGM_RSRC2:TRAP_HANDLER: 0
; COMPUTE_PGM_RSRC2:TGID_X_EN: 1
; COMPUTE_PGM_RSRC2:TGID_Y_EN: 0
; COMPUTE_PGM_RSRC2:TGID_Z_EN: 0
; COMPUTE_PGM_RSRC2:TIDIG_COMP_CNT: 2
	.section	.text._Z6kernelI9histogramILN6hipcub23BlockHistogramAlgorithmE1EEiLj256ELj8ELj256ELj100EEvPKT0_PS4_,"axG",@progbits,_Z6kernelI9histogramILN6hipcub23BlockHistogramAlgorithmE1EEiLj256ELj8ELj256ELj100EEvPKT0_PS4_,comdat
	.protected	_Z6kernelI9histogramILN6hipcub23BlockHistogramAlgorithmE1EEiLj256ELj8ELj256ELj100EEvPKT0_PS4_ ; -- Begin function _Z6kernelI9histogramILN6hipcub23BlockHistogramAlgorithmE1EEiLj256ELj8ELj256ELj100EEvPKT0_PS4_
	.globl	_Z6kernelI9histogramILN6hipcub23BlockHistogramAlgorithmE1EEiLj256ELj8ELj256ELj100EEvPKT0_PS4_
	.p2align	8
	.type	_Z6kernelI9histogramILN6hipcub23BlockHistogramAlgorithmE1EEiLj256ELj8ELj256ELj100EEvPKT0_PS4_,@function
_Z6kernelI9histogramILN6hipcub23BlockHistogramAlgorithmE1EEiLj256ELj8ELj256ELj100EEvPKT0_PS4_: ; @_Z6kernelI9histogramILN6hipcub23BlockHistogramAlgorithmE1EEiLj256ELj8ELj256ELj100EEvPKT0_PS4_
; %bb.0:
	v_mbcnt_lo_u32_b32 v11, -1, 0
	v_and_b32_e32 v13, 0x3ff, v0
	s_clause 0x1
	s_load_b128 s[16:19], s[0:1], 0x0
	s_load_b32 s1, s[0:1], 0x1c
	s_mov_b32 s20, 0
	v_dual_mov_b32 v15, 0 :: v_dual_lshlrev_b32 v20, 3, v13
	s_mov_b32 s21, s20
	v_and_b32_e32 v12, 0xe0, v13
	v_bfe_u32 v10, v0, 10, 10
	v_bfe_u32 v0, v0, 20, 10
	v_lshl_or_b32 v14, s15, 11, v20
	v_and_or_b32 v16, 0x700, v20, v11
	v_or_b32_e32 v23, 1, v20
	v_or_b32_e32 v25, 2, v20
	;; [unrolled: 1-line block ×3, first 2 shown]
	v_lshlrev_b64 v[1:2], 2, v[14:15]
	v_dual_mov_b32 v16, s20 :: v_dual_lshlrev_b32 v21, 2, v16
	v_mov_b32_e32 v17, s21
	v_or_b32_e32 v9, v11, v12
	v_or_b32_e32 v12, 31, v12
	s_waitcnt lgkmcnt(0)
	v_add_co_u32 v1, vcc_lo, s16, v1
	v_add_co_ci_u32_e32 v2, vcc_lo, s17, v2, vcc_lo
	s_lshr_b32 s2, s1, 16
	s_mov_b32 s16, s20
	s_clause 0x1
	global_load_b128 v[5:8], v[1:2], off
	global_load_b128 v[1:4], v[1:2], off offset:16
	v_mad_u32_u24 v0, v0, s2, v10
	s_mov_b32 s17, s20
	s_delay_alu instid0(SALU_CYCLE_1) | instskip(SKIP_3) | instid1(VALU_DEP_3)
	v_dual_mov_b32 v19, s17 :: v_dual_lshlrev_b32 v14, 5, v9
	s_and_b32 s1, s1, 0xffff
	v_or_b32_e32 v27, 4, v20
	v_mov_b32_e32 v18, s16
	v_mad_u64_u32 v[9:10], null, v0, s1, v[13:14]
	v_add_nc_u32_e32 v10, -1, v11
	v_and_b32_e32 v0, 15, v11
	v_or_b32_e32 v28, 5, v20
	v_or_b32_e32 v29, 6, v20
	;; [unrolled: 1-line block ×3, first 2 shown]
	v_cmp_gt_i32_e32 vcc_lo, 0, v10
	v_cmp_eq_u32_e64 s1, 0, v0
	v_cmp_lt_u32_e64 s2, 1, v0
	v_cmp_lt_u32_e64 s3, 3, v0
	;; [unrolled: 1-line block ×3, first 2 shown]
	v_cndmask_b32_e32 v0, v10, v11, vcc_lo
	v_lshlrev_b32_e32 v22, 5, v13
	v_lshrrev_b32_e32 v31, 5, v9
	v_and_b32_e32 v9, 16, v11
	v_cmp_gt_u32_e64 s0, 0x100, v13
	v_dual_mov_b32 v40, 0x800 :: v_dual_lshlrev_b32 v33, 2, v0
	v_mad_i32_i24 v32, 0xffffffe4, v13, v22
	v_lshrrev_b32_e32 v0, 3, v13
	v_cmp_eq_u32_e64 s5, 0, v9
	v_and_b32_e32 v9, 7, v11
	v_add_nc_u32_e32 v24, 32, v22
	v_mad_u32_u24 v35, v13, 28, v32
	v_and_b32_e32 v36, 28, v0
	v_cmp_eq_u32_e64 s6, v12, v13
	v_cmp_gt_u32_e64 s7, 8, v13
	v_cmp_lt_u32_e64 s8, 31, v13
	v_mad_i32_i24 v37, 0xffffffe4, v13, v35
	v_cmp_eq_u32_e64 s9, 0, v11
	v_cmp_eq_u32_e64 s10, 0, v13
	v_cmp_ne_u32_e64 s11, 0, v13
	v_cmp_eq_u32_e64 s12, 0, v9
	v_cmp_lt_u32_e64 s13, 1, v9
	v_cmp_lt_u32_e64 s14, 3, v9
	v_add_nc_u32_e32 v38, -4, v36
	v_lshl_add_u32 v34, v13, 2, 0x2020
	v_add_nc_u32_e32 v39, -4, v37
	s_branch .LBB34_2
.LBB34_1:                               ;   in Loop: Header=BB34_2 Depth=1
	s_or_b32 exec_lo, exec_lo, s16
	s_add_i32 s20, s20, 1
	s_delay_alu instid0(SALU_CYCLE_1)
	s_cmpk_eq_i32 s20, 0x64
	s_cbranch_scc1 .LBB34_53
.LBB34_2:                               ; =>This Loop Header: Depth=1
                                        ;     Child Loop BB34_6 Depth 2
	s_and_saveexec_b32 s16, s0
	s_cbranch_execz .LBB34_4
; %bb.3:                                ;   in Loop: Header=BB34_2 Depth=1
	ds_store_b32 v34, v15
.LBB34_4:                               ;   in Loop: Header=BB34_2 Depth=1
	s_or_b32 exec_lo, exec_lo, s16
	s_waitcnt vmcnt(1)
	v_xor_b32_e32 v5, 0x80000000, v5
	v_xor_b32_e32 v6, 0x80000000, v6
	;; [unrolled: 1-line block ×4, first 2 shown]
	s_waitcnt vmcnt(0)
	v_xor_b32_e32 v0, 0x80000000, v1
	v_xor_b32_e32 v1, 0x80000000, v2
	;; [unrolled: 1-line block ×4, first 2 shown]
	s_waitcnt lgkmcnt(0)
	s_barrier
	buffer_gl0_inv
	ds_store_2addr_b64 v14, v[5:6], v[7:8] offset1:1
	ds_store_2addr_b64 v14, v[0:1], v[2:3] offset0:2 offset1:3
	; wave barrier
	ds_load_2addr_b32 v[0:1], v21 offset1:32
	ds_load_2addr_b32 v[2:3], v21 offset0:64 offset1:96
	ds_load_2addr_b32 v[4:5], v21 offset0:128 offset1:160
	;; [unrolled: 1-line block ×3, first 2 shown]
	s_mov_b32 s17, 0
	s_waitcnt lgkmcnt(0)
	s_barrier
	buffer_gl0_inv
	; wave barrier
	s_barrier
	s_branch .LBB34_6
.LBB34_5:                               ;   in Loop: Header=BB34_6 Depth=2
	v_lshlrev_b32_e32 v0, 2, v54
	v_lshlrev_b32_e32 v1, 2, v51
	;; [unrolled: 1-line block ×3, first 2 shown]
	s_barrier
	buffer_gl0_inv
	ds_store_b32 v0, v8
	ds_store_b32 v1, v43
	;; [unrolled: 1-line block ×3, first 2 shown]
	v_lshlrev_b32_e32 v0, 2, v48
	v_lshlrev_b32_e32 v1, 2, v47
	v_lshlrev_b32_e32 v2, 2, v46
	v_lshlrev_b32_e32 v3, 2, v45
	v_lshlrev_b32_e32 v4, 2, v44
	ds_store_b32 v0, v41
	ds_store_b32 v1, v12
	;; [unrolled: 1-line block ×5, first 2 shown]
	s_waitcnt lgkmcnt(0)
	s_barrier
	buffer_gl0_inv
	ds_load_2addr_b32 v[0:1], v21 offset1:32
	ds_load_2addr_b32 v[2:3], v21 offset0:64 offset1:96
	ds_load_2addr_b32 v[4:5], v21 offset0:128 offset1:160
	;; [unrolled: 1-line block ×3, first 2 shown]
	s_add_i32 s17, s17, 8
	s_waitcnt lgkmcnt(0)
	s_barrier
	s_cbranch_execz .LBB34_30
.LBB34_6:                               ;   Parent Loop BB34_2 Depth=1
                                        ; =>  This Inner Loop Header: Depth=2
	v_mov_b32_e32 v8, v0
	buffer_gl0_inv
	ds_store_2addr_b64 v22, v[16:17], v[18:19] offset0:4 offset1:5
	ds_store_2addr_b64 v24, v[16:17], v[18:19] offset0:2 offset1:3
	s_waitcnt lgkmcnt(0)
	s_barrier
	v_lshrrev_b32_e32 v9, s17, v8
	buffer_gl0_inv
	; wave barrier
	v_lshlrev_b32_e32 v11, 30, v9
	v_bfe_u32 v0, v8, s17, 1
	v_lshlrev_b32_e32 v12, 29, v9
	v_lshlrev_b32_e32 v41, 28, v9
	;; [unrolled: 1-line block ×4, first 2 shown]
	v_add_co_u32 v0, s16, v0, -1
	s_delay_alu instid0(VALU_DEP_1) | instskip(SKIP_3) | instid1(VALU_DEP_4)
	v_cndmask_b32_e64 v10, 0, 1, s16
	v_cmp_gt_i32_e64 s16, 0, v11
	v_lshlrev_b32_e32 v44, 25, v9
	v_lshlrev_b32_e32 v9, 24, v9
	v_cmp_ne_u32_e32 vcc_lo, 0, v10
	v_not_b32_e32 v10, v11
	v_not_b32_e32 v11, v12
	v_xor_b32_e32 v0, vcc_lo, v0
	s_delay_alu instid0(VALU_DEP_3)
	v_ashrrev_i32_e32 v10, 31, v10
	v_cmp_gt_i32_e32 vcc_lo, 0, v12
	v_not_b32_e32 v12, v41
	v_ashrrev_i32_e32 v11, 31, v11
	v_and_b32_e32 v0, exec_lo, v0
	v_xor_b32_e32 v10, s16, v10
	v_cmp_gt_i32_e64 s16, 0, v41
	v_not_b32_e32 v41, v42
	v_ashrrev_i32_e32 v12, 31, v12
	v_xor_b32_e32 v11, vcc_lo, v11
	v_and_b32_e32 v0, v0, v10
	v_cmp_gt_i32_e32 vcc_lo, 0, v42
	v_ashrrev_i32_e32 v41, 31, v41
	v_xor_b32_e32 v12, s16, v12
	v_not_b32_e32 v10, v43
	v_and_b32_e32 v0, v0, v11
	v_cmp_gt_i32_e64 s16, 0, v43
	v_mov_b32_e32 v43, v1
	v_xor_b32_e32 v41, vcc_lo, v41
	v_ashrrev_i32_e32 v10, 31, v10
	v_and_b32_e32 v0, v0, v12
	v_mov_b32_e32 v42, v2
	v_not_b32_e32 v12, v9
	v_bfe_u32 v1, v8, s17, 8
	v_xor_b32_e32 v10, s16, v10
	v_dual_mov_b32 v41, v3 :: v_dual_and_b32 v0, v0, v41
	v_not_b32_e32 v11, v44
	v_cmp_gt_i32_e32 vcc_lo, 0, v44
	v_cmp_gt_i32_e64 s16, 0, v9
	v_ashrrev_i32_e32 v12, 31, v12
	v_and_b32_e32 v0, v0, v10
	v_ashrrev_i32_e32 v11, 31, v11
	v_mov_b32_e32 v9, v7
	v_lshl_add_u32 v1, v1, 3, v31
	v_xor_b32_e32 v7, s16, v12
	v_mov_b32_e32 v10, v6
	v_xor_b32_e32 v11, vcc_lo, v11
	v_mov_b32_e32 v12, v4
	v_lshl_add_u32 v45, v1, 2, 32
	s_delay_alu instid0(VALU_DEP_3) | instskip(NEXT) | instid1(VALU_DEP_1)
	v_dual_mov_b32 v11, v5 :: v_dual_and_b32 v0, v0, v11
	v_and_b32_e32 v0, v0, v7
	s_delay_alu instid0(VALU_DEP_1) | instskip(SKIP_1) | instid1(VALU_DEP_2)
	v_mbcnt_lo_u32_b32 v44, v0, 0
	v_cmp_ne_u32_e64 s16, 0, v0
	v_cmp_eq_u32_e32 vcc_lo, 0, v44
	s_delay_alu instid0(VALU_DEP_2) | instskip(NEXT) | instid1(SALU_CYCLE_1)
	s_and_b32 s21, s16, vcc_lo
	s_and_saveexec_b32 s16, s21
	s_cbranch_execz .LBB34_8
; %bb.7:                                ;   in Loop: Header=BB34_6 Depth=2
	v_bcnt_u32_b32 v0, v0, 0
	ds_store_b32 v45, v0
.LBB34_8:                               ;   in Loop: Header=BB34_6 Depth=2
	s_or_b32 exec_lo, exec_lo, s16
	v_bfe_u32 v0, v43, s17, 1
	v_lshrrev_b32_e32 v1, s17, v43
	; wave barrier
	s_delay_alu instid0(VALU_DEP_2) | instskip(NEXT) | instid1(VALU_DEP_1)
	v_add_co_u32 v0, s16, v0, -1
	v_cndmask_b32_e64 v2, 0, 1, s16
	s_delay_alu instid0(VALU_DEP_3)
	v_lshlrev_b32_e32 v3, 30, v1
	v_lshlrev_b32_e32 v4, 29, v1
	;; [unrolled: 1-line block ×4, first 2 shown]
	v_cmp_ne_u32_e32 vcc_lo, 0, v2
	v_not_b32_e32 v2, v3
	v_cmp_gt_i32_e64 s16, 0, v3
	v_not_b32_e32 v3, v4
	v_lshlrev_b32_e32 v7, 26, v1
	v_xor_b32_e32 v0, vcc_lo, v0
	v_ashrrev_i32_e32 v2, 31, v2
	v_cmp_gt_i32_e32 vcc_lo, 0, v4
	v_not_b32_e32 v4, v5
	v_ashrrev_i32_e32 v3, 31, v3
	v_and_b32_e32 v0, exec_lo, v0
	v_xor_b32_e32 v2, s16, v2
	v_cmp_gt_i32_e64 s16, 0, v5
	v_not_b32_e32 v5, v6
	v_ashrrev_i32_e32 v4, 31, v4
	v_xor_b32_e32 v3, vcc_lo, v3
	v_and_b32_e32 v0, v0, v2
	v_cmp_gt_i32_e32 vcc_lo, 0, v6
	v_not_b32_e32 v2, v7
	v_ashrrev_i32_e32 v5, 31, v5
	v_xor_b32_e32 v4, s16, v4
	v_and_b32_e32 v0, v0, v3
	v_lshlrev_b32_e32 v3, 25, v1
	v_cmp_gt_i32_e64 s16, 0, v7
	v_ashrrev_i32_e32 v2, 31, v2
	v_xor_b32_e32 v5, vcc_lo, v5
	v_and_b32_e32 v0, v0, v4
	v_not_b32_e32 v6, v3
	v_lshlrev_b32_e32 v1, 24, v1
	v_bfe_u32 v4, v43, s17, 8
	v_xor_b32_e32 v2, s16, v2
	v_and_b32_e32 v0, v0, v5
	v_cmp_gt_i32_e32 vcc_lo, 0, v3
	v_ashrrev_i32_e32 v3, 31, v6
	v_not_b32_e32 v5, v1
	v_lshlrev_b32_e32 v4, 3, v4
	v_and_b32_e32 v0, v0, v2
	s_delay_alu instid0(VALU_DEP_4) | instskip(SKIP_3) | instid1(VALU_DEP_4)
	v_xor_b32_e32 v2, vcc_lo, v3
	v_cmp_gt_i32_e32 vcc_lo, 0, v1
	v_ashrrev_i32_e32 v1, 31, v5
	v_add_lshl_u32 v3, v4, v31, 2
	v_and_b32_e32 v0, v0, v2
	s_delay_alu instid0(VALU_DEP_3) | instskip(SKIP_3) | instid1(VALU_DEP_1)
	v_xor_b32_e32 v1, vcc_lo, v1
	ds_load_b32 v46, v3 offset:32
	v_add_nc_u32_e32 v48, 32, v3
	; wave barrier
	v_and_b32_e32 v0, v0, v1
	v_mbcnt_lo_u32_b32 v47, v0, 0
	v_cmp_ne_u32_e64 s16, 0, v0
	s_delay_alu instid0(VALU_DEP_2) | instskip(NEXT) | instid1(VALU_DEP_2)
	v_cmp_eq_u32_e32 vcc_lo, 0, v47
	s_and_b32 s21, s16, vcc_lo
	s_delay_alu instid0(SALU_CYCLE_1)
	s_and_saveexec_b32 s16, s21
	s_cbranch_execz .LBB34_10
; %bb.9:                                ;   in Loop: Header=BB34_6 Depth=2
	s_waitcnt lgkmcnt(0)
	v_bcnt_u32_b32 v0, v0, v46
	ds_store_b32 v48, v0
.LBB34_10:                              ;   in Loop: Header=BB34_6 Depth=2
	s_or_b32 exec_lo, exec_lo, s16
	v_bfe_u32 v0, v42, s17, 1
	v_lshrrev_b32_e32 v1, s17, v42
	; wave barrier
	s_delay_alu instid0(VALU_DEP_2) | instskip(NEXT) | instid1(VALU_DEP_1)
	v_add_co_u32 v0, s16, v0, -1
	v_cndmask_b32_e64 v2, 0, 1, s16
	s_delay_alu instid0(VALU_DEP_3)
	v_lshlrev_b32_e32 v3, 30, v1
	v_lshlrev_b32_e32 v4, 29, v1
	v_lshlrev_b32_e32 v5, 28, v1
	v_lshlrev_b32_e32 v6, 27, v1
	v_cmp_ne_u32_e32 vcc_lo, 0, v2
	v_not_b32_e32 v2, v3
	v_cmp_gt_i32_e64 s16, 0, v3
	v_not_b32_e32 v3, v4
	v_lshlrev_b32_e32 v7, 26, v1
	v_xor_b32_e32 v0, vcc_lo, v0
	v_ashrrev_i32_e32 v2, 31, v2
	v_cmp_gt_i32_e32 vcc_lo, 0, v4
	v_not_b32_e32 v4, v5
	v_ashrrev_i32_e32 v3, 31, v3
	v_and_b32_e32 v0, exec_lo, v0
	v_xor_b32_e32 v2, s16, v2
	v_cmp_gt_i32_e64 s16, 0, v5
	v_not_b32_e32 v5, v6
	v_ashrrev_i32_e32 v4, 31, v4
	v_xor_b32_e32 v3, vcc_lo, v3
	v_and_b32_e32 v0, v0, v2
	v_cmp_gt_i32_e32 vcc_lo, 0, v6
	v_not_b32_e32 v2, v7
	v_ashrrev_i32_e32 v5, 31, v5
	v_xor_b32_e32 v4, s16, v4
	v_and_b32_e32 v0, v0, v3
	v_lshlrev_b32_e32 v3, 25, v1
	v_cmp_gt_i32_e64 s16, 0, v7
	v_ashrrev_i32_e32 v2, 31, v2
	v_xor_b32_e32 v5, vcc_lo, v5
	v_and_b32_e32 v0, v0, v4
	v_not_b32_e32 v6, v3
	v_lshlrev_b32_e32 v1, 24, v1
	v_bfe_u32 v4, v42, s17, 8
	v_xor_b32_e32 v2, s16, v2
	v_and_b32_e32 v0, v0, v5
	v_cmp_gt_i32_e32 vcc_lo, 0, v3
	v_ashrrev_i32_e32 v3, 31, v6
	v_not_b32_e32 v5, v1
	v_lshlrev_b32_e32 v4, 3, v4
	v_and_b32_e32 v0, v0, v2
	s_delay_alu instid0(VALU_DEP_4) | instskip(SKIP_3) | instid1(VALU_DEP_4)
	v_xor_b32_e32 v2, vcc_lo, v3
	v_cmp_gt_i32_e32 vcc_lo, 0, v1
	v_ashrrev_i32_e32 v1, 31, v5
	v_add_lshl_u32 v3, v4, v31, 2
	v_and_b32_e32 v0, v0, v2
	s_delay_alu instid0(VALU_DEP_3) | instskip(SKIP_3) | instid1(VALU_DEP_1)
	v_xor_b32_e32 v1, vcc_lo, v1
	ds_load_b32 v49, v3 offset:32
	v_add_nc_u32_e32 v51, 32, v3
	; wave barrier
	v_and_b32_e32 v0, v0, v1
	v_mbcnt_lo_u32_b32 v50, v0, 0
	v_cmp_ne_u32_e64 s16, 0, v0
	s_delay_alu instid0(VALU_DEP_2) | instskip(NEXT) | instid1(VALU_DEP_2)
	v_cmp_eq_u32_e32 vcc_lo, 0, v50
	s_and_b32 s21, s16, vcc_lo
	s_delay_alu instid0(SALU_CYCLE_1)
	s_and_saveexec_b32 s16, s21
	s_cbranch_execz .LBB34_12
; %bb.11:                               ;   in Loop: Header=BB34_6 Depth=2
	s_waitcnt lgkmcnt(0)
	v_bcnt_u32_b32 v0, v0, v49
	ds_store_b32 v51, v0
.LBB34_12:                              ;   in Loop: Header=BB34_6 Depth=2
	s_or_b32 exec_lo, exec_lo, s16
	v_bfe_u32 v0, v41, s17, 1
	v_lshrrev_b32_e32 v1, s17, v41
	; wave barrier
	s_delay_alu instid0(VALU_DEP_2) | instskip(NEXT) | instid1(VALU_DEP_1)
	v_add_co_u32 v0, s16, v0, -1
	v_cndmask_b32_e64 v2, 0, 1, s16
	s_delay_alu instid0(VALU_DEP_3)
	v_lshlrev_b32_e32 v3, 30, v1
	v_lshlrev_b32_e32 v4, 29, v1
	;; [unrolled: 1-line block ×4, first 2 shown]
	v_cmp_ne_u32_e32 vcc_lo, 0, v2
	v_not_b32_e32 v2, v3
	v_cmp_gt_i32_e64 s16, 0, v3
	v_not_b32_e32 v3, v4
	v_lshlrev_b32_e32 v7, 26, v1
	v_xor_b32_e32 v0, vcc_lo, v0
	v_ashrrev_i32_e32 v2, 31, v2
	v_cmp_gt_i32_e32 vcc_lo, 0, v4
	v_not_b32_e32 v4, v5
	v_ashrrev_i32_e32 v3, 31, v3
	v_and_b32_e32 v0, exec_lo, v0
	v_xor_b32_e32 v2, s16, v2
	v_cmp_gt_i32_e64 s16, 0, v5
	v_not_b32_e32 v5, v6
	v_ashrrev_i32_e32 v4, 31, v4
	v_xor_b32_e32 v3, vcc_lo, v3
	v_and_b32_e32 v0, v0, v2
	v_cmp_gt_i32_e32 vcc_lo, 0, v6
	v_not_b32_e32 v2, v7
	v_ashrrev_i32_e32 v5, 31, v5
	v_xor_b32_e32 v4, s16, v4
	v_and_b32_e32 v0, v0, v3
	v_lshlrev_b32_e32 v3, 25, v1
	v_cmp_gt_i32_e64 s16, 0, v7
	v_ashrrev_i32_e32 v2, 31, v2
	v_xor_b32_e32 v5, vcc_lo, v5
	v_and_b32_e32 v0, v0, v4
	v_not_b32_e32 v6, v3
	v_lshlrev_b32_e32 v1, 24, v1
	v_bfe_u32 v4, v41, s17, 8
	v_xor_b32_e32 v2, s16, v2
	v_and_b32_e32 v0, v0, v5
	v_cmp_gt_i32_e32 vcc_lo, 0, v3
	v_ashrrev_i32_e32 v3, 31, v6
	v_not_b32_e32 v5, v1
	v_lshlrev_b32_e32 v4, 3, v4
	v_and_b32_e32 v0, v0, v2
	s_delay_alu instid0(VALU_DEP_4) | instskip(SKIP_3) | instid1(VALU_DEP_4)
	v_xor_b32_e32 v2, vcc_lo, v3
	v_cmp_gt_i32_e32 vcc_lo, 0, v1
	v_ashrrev_i32_e32 v1, 31, v5
	v_add_lshl_u32 v3, v4, v31, 2
	v_and_b32_e32 v0, v0, v2
	s_delay_alu instid0(VALU_DEP_3) | instskip(SKIP_3) | instid1(VALU_DEP_1)
	v_xor_b32_e32 v1, vcc_lo, v1
	ds_load_b32 v52, v3 offset:32
	v_add_nc_u32_e32 v54, 32, v3
	; wave barrier
	v_and_b32_e32 v0, v0, v1
	v_mbcnt_lo_u32_b32 v53, v0, 0
	v_cmp_ne_u32_e64 s16, 0, v0
	s_delay_alu instid0(VALU_DEP_2) | instskip(NEXT) | instid1(VALU_DEP_2)
	v_cmp_eq_u32_e32 vcc_lo, 0, v53
	s_and_b32 s21, s16, vcc_lo
	s_delay_alu instid0(SALU_CYCLE_1)
	s_and_saveexec_b32 s16, s21
	s_cbranch_execz .LBB34_14
; %bb.13:                               ;   in Loop: Header=BB34_6 Depth=2
	s_waitcnt lgkmcnt(0)
	v_bcnt_u32_b32 v0, v0, v52
	ds_store_b32 v54, v0
.LBB34_14:                              ;   in Loop: Header=BB34_6 Depth=2
	s_or_b32 exec_lo, exec_lo, s16
	v_bfe_u32 v0, v12, s17, 1
	v_lshrrev_b32_e32 v1, s17, v12
	; wave barrier
	s_delay_alu instid0(VALU_DEP_2) | instskip(NEXT) | instid1(VALU_DEP_1)
	v_add_co_u32 v0, s16, v0, -1
	v_cndmask_b32_e64 v2, 0, 1, s16
	s_delay_alu instid0(VALU_DEP_3)
	v_lshlrev_b32_e32 v3, 30, v1
	v_lshlrev_b32_e32 v4, 29, v1
	;; [unrolled: 1-line block ×4, first 2 shown]
	v_cmp_ne_u32_e32 vcc_lo, 0, v2
	v_not_b32_e32 v2, v3
	v_cmp_gt_i32_e64 s16, 0, v3
	v_not_b32_e32 v3, v4
	v_lshlrev_b32_e32 v7, 26, v1
	v_xor_b32_e32 v0, vcc_lo, v0
	v_ashrrev_i32_e32 v2, 31, v2
	v_cmp_gt_i32_e32 vcc_lo, 0, v4
	v_not_b32_e32 v4, v5
	v_ashrrev_i32_e32 v3, 31, v3
	v_and_b32_e32 v0, exec_lo, v0
	v_xor_b32_e32 v2, s16, v2
	v_cmp_gt_i32_e64 s16, 0, v5
	v_not_b32_e32 v5, v6
	v_ashrrev_i32_e32 v4, 31, v4
	v_xor_b32_e32 v3, vcc_lo, v3
	v_and_b32_e32 v0, v0, v2
	v_cmp_gt_i32_e32 vcc_lo, 0, v6
	v_not_b32_e32 v2, v7
	v_ashrrev_i32_e32 v5, 31, v5
	v_xor_b32_e32 v4, s16, v4
	v_and_b32_e32 v0, v0, v3
	v_lshlrev_b32_e32 v3, 25, v1
	v_cmp_gt_i32_e64 s16, 0, v7
	v_ashrrev_i32_e32 v2, 31, v2
	v_xor_b32_e32 v5, vcc_lo, v5
	v_and_b32_e32 v0, v0, v4
	v_not_b32_e32 v6, v3
	v_lshlrev_b32_e32 v1, 24, v1
	v_bfe_u32 v4, v12, s17, 8
	v_xor_b32_e32 v2, s16, v2
	v_and_b32_e32 v0, v0, v5
	v_cmp_gt_i32_e32 vcc_lo, 0, v3
	v_ashrrev_i32_e32 v3, 31, v6
	v_not_b32_e32 v5, v1
	v_lshlrev_b32_e32 v4, 3, v4
	v_and_b32_e32 v0, v0, v2
	s_delay_alu instid0(VALU_DEP_4) | instskip(SKIP_3) | instid1(VALU_DEP_4)
	v_xor_b32_e32 v2, vcc_lo, v3
	v_cmp_gt_i32_e32 vcc_lo, 0, v1
	v_ashrrev_i32_e32 v1, 31, v5
	v_add_lshl_u32 v3, v4, v31, 2
	v_and_b32_e32 v0, v0, v2
	s_delay_alu instid0(VALU_DEP_3) | instskip(SKIP_3) | instid1(VALU_DEP_1)
	v_xor_b32_e32 v1, vcc_lo, v1
	ds_load_b32 v55, v3 offset:32
	v_add_nc_u32_e32 v57, 32, v3
	; wave barrier
	v_and_b32_e32 v0, v0, v1
	v_mbcnt_lo_u32_b32 v56, v0, 0
	v_cmp_ne_u32_e64 s16, 0, v0
	s_delay_alu instid0(VALU_DEP_2) | instskip(NEXT) | instid1(VALU_DEP_2)
	v_cmp_eq_u32_e32 vcc_lo, 0, v56
	s_and_b32 s21, s16, vcc_lo
	s_delay_alu instid0(SALU_CYCLE_1)
	s_and_saveexec_b32 s16, s21
	s_cbranch_execz .LBB34_16
; %bb.15:                               ;   in Loop: Header=BB34_6 Depth=2
	s_waitcnt lgkmcnt(0)
	v_bcnt_u32_b32 v0, v0, v55
	ds_store_b32 v57, v0
.LBB34_16:                              ;   in Loop: Header=BB34_6 Depth=2
	s_or_b32 exec_lo, exec_lo, s16
	v_bfe_u32 v0, v11, s17, 1
	v_lshrrev_b32_e32 v1, s17, v11
	; wave barrier
	s_delay_alu instid0(VALU_DEP_2) | instskip(NEXT) | instid1(VALU_DEP_1)
	v_add_co_u32 v0, s16, v0, -1
	v_cndmask_b32_e64 v2, 0, 1, s16
	s_delay_alu instid0(VALU_DEP_3)
	v_lshlrev_b32_e32 v3, 30, v1
	v_lshlrev_b32_e32 v4, 29, v1
	;; [unrolled: 1-line block ×4, first 2 shown]
	v_cmp_ne_u32_e32 vcc_lo, 0, v2
	v_not_b32_e32 v2, v3
	v_cmp_gt_i32_e64 s16, 0, v3
	v_not_b32_e32 v3, v4
	v_lshlrev_b32_e32 v7, 26, v1
	v_xor_b32_e32 v0, vcc_lo, v0
	v_ashrrev_i32_e32 v2, 31, v2
	v_cmp_gt_i32_e32 vcc_lo, 0, v4
	v_not_b32_e32 v4, v5
	v_ashrrev_i32_e32 v3, 31, v3
	v_and_b32_e32 v0, exec_lo, v0
	v_xor_b32_e32 v2, s16, v2
	v_cmp_gt_i32_e64 s16, 0, v5
	v_not_b32_e32 v5, v6
	v_ashrrev_i32_e32 v4, 31, v4
	v_xor_b32_e32 v3, vcc_lo, v3
	v_and_b32_e32 v0, v0, v2
	v_cmp_gt_i32_e32 vcc_lo, 0, v6
	v_not_b32_e32 v2, v7
	v_ashrrev_i32_e32 v5, 31, v5
	v_xor_b32_e32 v4, s16, v4
	v_and_b32_e32 v0, v0, v3
	v_lshlrev_b32_e32 v3, 25, v1
	v_cmp_gt_i32_e64 s16, 0, v7
	v_ashrrev_i32_e32 v2, 31, v2
	v_xor_b32_e32 v5, vcc_lo, v5
	v_and_b32_e32 v0, v0, v4
	v_not_b32_e32 v6, v3
	v_lshlrev_b32_e32 v1, 24, v1
	v_bfe_u32 v4, v11, s17, 8
	v_xor_b32_e32 v2, s16, v2
	v_and_b32_e32 v0, v0, v5
	v_cmp_gt_i32_e32 vcc_lo, 0, v3
	v_ashrrev_i32_e32 v3, 31, v6
	v_not_b32_e32 v5, v1
	v_lshlrev_b32_e32 v4, 3, v4
	v_and_b32_e32 v0, v0, v2
	s_delay_alu instid0(VALU_DEP_4) | instskip(SKIP_3) | instid1(VALU_DEP_4)
	v_xor_b32_e32 v2, vcc_lo, v3
	v_cmp_gt_i32_e32 vcc_lo, 0, v1
	v_ashrrev_i32_e32 v1, 31, v5
	v_add_lshl_u32 v3, v4, v31, 2
	v_and_b32_e32 v0, v0, v2
	s_delay_alu instid0(VALU_DEP_3) | instskip(SKIP_3) | instid1(VALU_DEP_1)
	v_xor_b32_e32 v1, vcc_lo, v1
	ds_load_b32 v58, v3 offset:32
	v_add_nc_u32_e32 v60, 32, v3
	; wave barrier
	v_and_b32_e32 v0, v0, v1
	v_mbcnt_lo_u32_b32 v59, v0, 0
	v_cmp_ne_u32_e64 s16, 0, v0
	s_delay_alu instid0(VALU_DEP_2) | instskip(NEXT) | instid1(VALU_DEP_2)
	v_cmp_eq_u32_e32 vcc_lo, 0, v59
	s_and_b32 s21, s16, vcc_lo
	s_delay_alu instid0(SALU_CYCLE_1)
	s_and_saveexec_b32 s16, s21
	s_cbranch_execz .LBB34_18
; %bb.17:                               ;   in Loop: Header=BB34_6 Depth=2
	s_waitcnt lgkmcnt(0)
	v_bcnt_u32_b32 v0, v0, v58
	ds_store_b32 v60, v0
.LBB34_18:                              ;   in Loop: Header=BB34_6 Depth=2
	s_or_b32 exec_lo, exec_lo, s16
	v_bfe_u32 v0, v10, s17, 1
	v_lshrrev_b32_e32 v1, s17, v10
	; wave barrier
	s_delay_alu instid0(VALU_DEP_2) | instskip(NEXT) | instid1(VALU_DEP_1)
	v_add_co_u32 v0, s16, v0, -1
	v_cndmask_b32_e64 v2, 0, 1, s16
	s_delay_alu instid0(VALU_DEP_3)
	v_lshlrev_b32_e32 v3, 30, v1
	v_lshlrev_b32_e32 v4, 29, v1
	v_lshlrev_b32_e32 v5, 28, v1
	v_lshlrev_b32_e32 v6, 27, v1
	v_cmp_ne_u32_e32 vcc_lo, 0, v2
	v_not_b32_e32 v2, v3
	v_cmp_gt_i32_e64 s16, 0, v3
	v_not_b32_e32 v3, v4
	v_lshlrev_b32_e32 v7, 26, v1
	v_xor_b32_e32 v0, vcc_lo, v0
	v_ashrrev_i32_e32 v2, 31, v2
	v_cmp_gt_i32_e32 vcc_lo, 0, v4
	v_not_b32_e32 v4, v5
	v_ashrrev_i32_e32 v3, 31, v3
	v_and_b32_e32 v0, exec_lo, v0
	v_xor_b32_e32 v2, s16, v2
	v_cmp_gt_i32_e64 s16, 0, v5
	v_not_b32_e32 v5, v6
	v_ashrrev_i32_e32 v4, 31, v4
	v_xor_b32_e32 v3, vcc_lo, v3
	v_and_b32_e32 v0, v0, v2
	v_cmp_gt_i32_e32 vcc_lo, 0, v6
	v_not_b32_e32 v2, v7
	v_ashrrev_i32_e32 v5, 31, v5
	v_xor_b32_e32 v4, s16, v4
	v_and_b32_e32 v0, v0, v3
	v_lshlrev_b32_e32 v3, 25, v1
	v_cmp_gt_i32_e64 s16, 0, v7
	v_ashrrev_i32_e32 v2, 31, v2
	v_xor_b32_e32 v5, vcc_lo, v5
	v_and_b32_e32 v0, v0, v4
	v_not_b32_e32 v6, v3
	v_lshlrev_b32_e32 v1, 24, v1
	v_bfe_u32 v4, v10, s17, 8
	v_xor_b32_e32 v2, s16, v2
	v_and_b32_e32 v0, v0, v5
	v_cmp_gt_i32_e32 vcc_lo, 0, v3
	v_ashrrev_i32_e32 v3, 31, v6
	v_not_b32_e32 v5, v1
	v_lshlrev_b32_e32 v4, 3, v4
	v_and_b32_e32 v0, v0, v2
	s_delay_alu instid0(VALU_DEP_4) | instskip(SKIP_3) | instid1(VALU_DEP_4)
	v_xor_b32_e32 v2, vcc_lo, v3
	v_cmp_gt_i32_e32 vcc_lo, 0, v1
	v_ashrrev_i32_e32 v1, 31, v5
	v_add_lshl_u32 v3, v4, v31, 2
	v_and_b32_e32 v0, v0, v2
	s_delay_alu instid0(VALU_DEP_3) | instskip(SKIP_3) | instid1(VALU_DEP_1)
	v_xor_b32_e32 v1, vcc_lo, v1
	ds_load_b32 v61, v3 offset:32
	v_add_nc_u32_e32 v63, 32, v3
	; wave barrier
	v_and_b32_e32 v0, v0, v1
	v_mbcnt_lo_u32_b32 v62, v0, 0
	v_cmp_ne_u32_e64 s16, 0, v0
	s_delay_alu instid0(VALU_DEP_2) | instskip(NEXT) | instid1(VALU_DEP_2)
	v_cmp_eq_u32_e32 vcc_lo, 0, v62
	s_and_b32 s21, s16, vcc_lo
	s_delay_alu instid0(SALU_CYCLE_1)
	s_and_saveexec_b32 s16, s21
	s_cbranch_execz .LBB34_20
; %bb.19:                               ;   in Loop: Header=BB34_6 Depth=2
	s_waitcnt lgkmcnt(0)
	v_bcnt_u32_b32 v0, v0, v61
	ds_store_b32 v63, v0
.LBB34_20:                              ;   in Loop: Header=BB34_6 Depth=2
	s_or_b32 exec_lo, exec_lo, s16
	v_bfe_u32 v0, v9, s17, 1
	v_lshrrev_b32_e32 v1, s17, v9
	; wave barrier
	s_delay_alu instid0(VALU_DEP_2) | instskip(NEXT) | instid1(VALU_DEP_1)
	v_add_co_u32 v0, s16, v0, -1
	v_cndmask_b32_e64 v2, 0, 1, s16
	s_delay_alu instid0(VALU_DEP_3)
	v_lshlrev_b32_e32 v3, 30, v1
	v_lshlrev_b32_e32 v4, 29, v1
	;; [unrolled: 1-line block ×4, first 2 shown]
	v_cmp_ne_u32_e32 vcc_lo, 0, v2
	v_not_b32_e32 v2, v3
	v_cmp_gt_i32_e64 s16, 0, v3
	v_not_b32_e32 v3, v4
	v_lshlrev_b32_e32 v7, 26, v1
	v_xor_b32_e32 v0, vcc_lo, v0
	v_ashrrev_i32_e32 v2, 31, v2
	v_cmp_gt_i32_e32 vcc_lo, 0, v4
	v_not_b32_e32 v4, v5
	v_ashrrev_i32_e32 v3, 31, v3
	v_and_b32_e32 v0, exec_lo, v0
	v_xor_b32_e32 v2, s16, v2
	v_cmp_gt_i32_e64 s16, 0, v5
	v_not_b32_e32 v5, v6
	v_ashrrev_i32_e32 v4, 31, v4
	v_xor_b32_e32 v3, vcc_lo, v3
	v_and_b32_e32 v0, v0, v2
	v_cmp_gt_i32_e32 vcc_lo, 0, v6
	v_not_b32_e32 v2, v7
	v_ashrrev_i32_e32 v5, 31, v5
	v_xor_b32_e32 v4, s16, v4
	v_and_b32_e32 v0, v0, v3
	v_lshlrev_b32_e32 v3, 25, v1
	v_cmp_gt_i32_e64 s16, 0, v7
	v_ashrrev_i32_e32 v2, 31, v2
	v_xor_b32_e32 v5, vcc_lo, v5
	v_and_b32_e32 v0, v0, v4
	v_not_b32_e32 v6, v3
	v_lshlrev_b32_e32 v1, 24, v1
	v_bfe_u32 v4, v9, s17, 8
	v_xor_b32_e32 v2, s16, v2
	v_and_b32_e32 v0, v0, v5
	v_cmp_gt_i32_e32 vcc_lo, 0, v3
	v_ashrrev_i32_e32 v3, 31, v6
	v_not_b32_e32 v5, v1
	v_lshlrev_b32_e32 v4, 3, v4
	v_and_b32_e32 v0, v0, v2
	s_delay_alu instid0(VALU_DEP_4) | instskip(SKIP_3) | instid1(VALU_DEP_4)
	v_xor_b32_e32 v2, vcc_lo, v3
	v_cmp_gt_i32_e32 vcc_lo, 0, v1
	v_ashrrev_i32_e32 v1, 31, v5
	v_add_lshl_u32 v3, v4, v31, 2
	v_and_b32_e32 v0, v0, v2
	s_delay_alu instid0(VALU_DEP_3) | instskip(SKIP_3) | instid1(VALU_DEP_1)
	v_xor_b32_e32 v1, vcc_lo, v1
	ds_load_b32 v64, v3 offset:32
	v_add_nc_u32_e32 v66, 32, v3
	; wave barrier
	v_and_b32_e32 v0, v0, v1
	v_mbcnt_lo_u32_b32 v65, v0, 0
	v_cmp_ne_u32_e64 s16, 0, v0
	s_delay_alu instid0(VALU_DEP_2) | instskip(NEXT) | instid1(VALU_DEP_2)
	v_cmp_eq_u32_e32 vcc_lo, 0, v65
	s_and_b32 s21, s16, vcc_lo
	s_delay_alu instid0(SALU_CYCLE_1)
	s_and_saveexec_b32 s16, s21
	s_cbranch_execz .LBB34_22
; %bb.21:                               ;   in Loop: Header=BB34_6 Depth=2
	s_waitcnt lgkmcnt(0)
	v_bcnt_u32_b32 v0, v0, v64
	ds_store_b32 v66, v0
.LBB34_22:                              ;   in Loop: Header=BB34_6 Depth=2
	s_or_b32 exec_lo, exec_lo, s16
	; wave barrier
	s_waitcnt lgkmcnt(0)
	s_barrier
	buffer_gl0_inv
	ds_load_2addr_b64 v[4:7], v22 offset0:4 offset1:5
	ds_load_2addr_b64 v[0:3], v24 offset0:2 offset1:3
	s_waitcnt lgkmcnt(1)
	v_add_nc_u32_e32 v67, v5, v4
	s_delay_alu instid0(VALU_DEP_1) | instskip(SKIP_1) | instid1(VALU_DEP_1)
	v_add3_u32 v67, v67, v6, v7
	s_waitcnt lgkmcnt(0)
	v_add3_u32 v67, v67, v0, v1
	s_delay_alu instid0(VALU_DEP_1) | instskip(NEXT) | instid1(VALU_DEP_1)
	v_add3_u32 v3, v67, v2, v3
	v_mov_b32_dpp v67, v3 row_shr:1 row_mask:0xf bank_mask:0xf
	s_delay_alu instid0(VALU_DEP_1) | instskip(NEXT) | instid1(VALU_DEP_1)
	v_cndmask_b32_e64 v67, v67, 0, s1
	v_add_nc_u32_e32 v3, v67, v3
	s_delay_alu instid0(VALU_DEP_1) | instskip(NEXT) | instid1(VALU_DEP_1)
	v_mov_b32_dpp v67, v3 row_shr:2 row_mask:0xf bank_mask:0xf
	v_cndmask_b32_e64 v67, 0, v67, s2
	s_delay_alu instid0(VALU_DEP_1) | instskip(NEXT) | instid1(VALU_DEP_1)
	v_add_nc_u32_e32 v3, v3, v67
	v_mov_b32_dpp v67, v3 row_shr:4 row_mask:0xf bank_mask:0xf
	s_delay_alu instid0(VALU_DEP_1) | instskip(NEXT) | instid1(VALU_DEP_1)
	v_cndmask_b32_e64 v67, 0, v67, s3
	v_add_nc_u32_e32 v3, v3, v67
	s_delay_alu instid0(VALU_DEP_1) | instskip(NEXT) | instid1(VALU_DEP_1)
	v_mov_b32_dpp v67, v3 row_shr:8 row_mask:0xf bank_mask:0xf
	v_cndmask_b32_e64 v67, 0, v67, s4
	s_delay_alu instid0(VALU_DEP_1) | instskip(SKIP_3) | instid1(VALU_DEP_1)
	v_add_nc_u32_e32 v3, v3, v67
	ds_swizzle_b32 v67, v3 offset:swizzle(BROADCAST,32,15)
	s_waitcnt lgkmcnt(0)
	v_cndmask_b32_e64 v67, v67, 0, s5
	v_add_nc_u32_e32 v3, v3, v67
	s_and_saveexec_b32 s16, s6
	s_cbranch_execz .LBB34_24
; %bb.23:                               ;   in Loop: Header=BB34_6 Depth=2
	ds_store_b32 v36, v3
.LBB34_24:                              ;   in Loop: Header=BB34_6 Depth=2
	s_or_b32 exec_lo, exec_lo, s16
	s_waitcnt lgkmcnt(0)
	s_barrier
	buffer_gl0_inv
	s_and_saveexec_b32 s16, s7
	s_cbranch_execz .LBB34_26
; %bb.25:                               ;   in Loop: Header=BB34_6 Depth=2
	ds_load_b32 v67, v32
	s_waitcnt lgkmcnt(0)
	v_mov_b32_dpp v68, v67 row_shr:1 row_mask:0xf bank_mask:0xf
	s_delay_alu instid0(VALU_DEP_1) | instskip(NEXT) | instid1(VALU_DEP_1)
	v_cndmask_b32_e64 v68, v68, 0, s12
	v_add_nc_u32_e32 v67, v68, v67
	s_delay_alu instid0(VALU_DEP_1) | instskip(NEXT) | instid1(VALU_DEP_1)
	v_mov_b32_dpp v68, v67 row_shr:2 row_mask:0xf bank_mask:0xf
	v_cndmask_b32_e64 v68, 0, v68, s13
	s_delay_alu instid0(VALU_DEP_1) | instskip(NEXT) | instid1(VALU_DEP_1)
	v_add_nc_u32_e32 v67, v67, v68
	v_mov_b32_dpp v68, v67 row_shr:4 row_mask:0xf bank_mask:0xf
	s_delay_alu instid0(VALU_DEP_1) | instskip(NEXT) | instid1(VALU_DEP_1)
	v_cndmask_b32_e64 v68, 0, v68, s14
	v_add_nc_u32_e32 v67, v67, v68
	ds_store_b32 v32, v67
.LBB34_26:                              ;   in Loop: Header=BB34_6 Depth=2
	s_or_b32 exec_lo, exec_lo, s16
	v_mov_b32_e32 v67, 0
	s_waitcnt lgkmcnt(0)
	s_barrier
	buffer_gl0_inv
	s_and_saveexec_b32 s16, s8
	s_cbranch_execz .LBB34_28
; %bb.27:                               ;   in Loop: Header=BB34_6 Depth=2
	ds_load_b32 v67, v38
.LBB34_28:                              ;   in Loop: Header=BB34_6 Depth=2
	s_or_b32 exec_lo, exec_lo, s16
	s_waitcnt lgkmcnt(0)
	v_add_nc_u32_e32 v3, v67, v3
	s_cmp_gt_u32 s17, 23
	ds_bpermute_b32 v3, v33, v3
	s_waitcnt lgkmcnt(0)
	v_cndmask_b32_e64 v3, v3, v67, s9
	s_delay_alu instid0(VALU_DEP_1) | instskip(NEXT) | instid1(VALU_DEP_1)
	v_cndmask_b32_e64 v3, v3, 0, s10
	v_add_nc_u32_e32 v4, v3, v4
	s_delay_alu instid0(VALU_DEP_1) | instskip(NEXT) | instid1(VALU_DEP_1)
	v_add_nc_u32_e32 v5, v4, v5
	v_add_nc_u32_e32 v6, v5, v6
	s_delay_alu instid0(VALU_DEP_1) | instskip(NEXT) | instid1(VALU_DEP_1)
	v_add_nc_u32_e32 v67, v6, v7
	;; [unrolled: 3-line block ×3, first 2 shown]
	v_add_nc_u32_e32 v1, v0, v2
	ds_store_2addr_b64 v22, v[3:4], v[5:6] offset0:4 offset1:5
	ds_store_2addr_b64 v24, v[67:68], v[0:1] offset0:2 offset1:3
	s_waitcnt lgkmcnt(0)
	s_barrier
	buffer_gl0_inv
	ds_load_b32 v0, v45
	ds_load_b32 v1, v48
	;; [unrolled: 1-line block ×8, first 2 shown]
	s_waitcnt lgkmcnt(7)
	v_add_nc_u32_e32 v54, v0, v44
	s_waitcnt lgkmcnt(6)
	v_add3_u32 v51, v47, v46, v1
	s_waitcnt lgkmcnt(5)
	v_add3_u32 v49, v50, v49, v2
	;; [unrolled: 2-line block ×7, first 2 shown]
	s_cbranch_scc0 .LBB34_5
; %bb.29:                               ;   in Loop: Header=BB34_2 Depth=1
                                        ; implicit-def: $vgpr7
                                        ; implicit-def: $vgpr5
                                        ; implicit-def: $vgpr3
                                        ; implicit-def: $vgpr1
                                        ; implicit-def: $sgpr17
.LBB34_30:                              ;   in Loop: Header=BB34_2 Depth=1
	v_lshlrev_b32_e32 v0, 2, v54
	v_lshlrev_b32_e32 v1, 2, v51
	;; [unrolled: 1-line block ×3, first 2 shown]
	s_barrier
	buffer_gl0_inv
	ds_store_b32 v0, v8
	ds_store_b32 v1, v43
	;; [unrolled: 1-line block ×3, first 2 shown]
	v_lshlrev_b32_e32 v0, 2, v48
	v_lshlrev_b32_e32 v1, 2, v47
	;; [unrolled: 1-line block ×5, first 2 shown]
	ds_store_b32 v0, v41
	ds_store_b32 v1, v12
	;; [unrolled: 1-line block ×5, first 2 shown]
	s_waitcnt lgkmcnt(0)
	s_barrier
	buffer_gl0_inv
	ds_load_2addr_b64 v[9:12], v35 offset1:1
	ds_load_2addr_b64 v[5:8], v35 offset0:2 offset1:3
	s_waitcnt lgkmcnt(0)
	s_barrier
	buffer_gl0_inv
	s_and_saveexec_b32 s16, s0
	s_cbranch_execz .LBB34_32
; %bb.31:                               ;   in Loop: Header=BB34_2 Depth=1
	ds_store_2addr_stride64_b32 v37, v40, v40 offset0:8 offset1:12
.LBB34_32:                              ;   in Loop: Header=BB34_2 Depth=1
	s_or_b32 exec_lo, exec_lo, s16
	v_xor_b32_e32 v4, 0x80000000, v8
	v_xor_b32_e32 v3, 0x80000000, v7
	s_mov_b32 s16, exec_lo
	s_waitcnt lgkmcnt(0)
	s_barrier
	v_mov_b32_e32 v0, v4
	buffer_gl0_inv
	ds_store_b32 v32, v4
	v_cmpx_ne_u32_e64 v7, v8
	s_cbranch_execz .LBB34_34
; %bb.33:                               ;   in Loop: Header=BB34_2 Depth=1
	v_dual_mov_b32 v0, v3 :: v_dual_lshlrev_b32 v1, 2, v4
	v_lshlrev_b32_e32 v2, 2, v3
	ds_store_b32 v1, v30 offset:2048
	ds_store_b32 v2, v30 offset:3072
.LBB34_34:                              ;   in Loop: Header=BB34_2 Depth=1
	s_or_b32 exec_lo, exec_lo, s16
	v_xor_b32_e32 v2, 0x80000000, v6
	s_mov_b32 s16, exec_lo
	s_delay_alu instid0(VALU_DEP_1)
	v_lshlrev_b32_e32 v7, 2, v2
	v_cmpx_ne_u32_e64 v2, v0
	s_cbranch_execz .LBB34_36
; %bb.35:                               ;   in Loop: Header=BB34_2 Depth=1
	v_lshlrev_b32_e32 v0, 2, v0
	ds_store_b32 v0, v29 offset:2048
	ds_store_b32 v7, v29 offset:3072
.LBB34_36:                              ;   in Loop: Header=BB34_2 Depth=1
	s_or_b32 exec_lo, exec_lo, s16
	v_xor_b32_e32 v1, 0x80000000, v5
	s_mov_b32 s16, exec_lo
	s_delay_alu instid0(VALU_DEP_1)
	v_lshlrev_b32_e32 v0, 2, v1
	v_cmpx_ne_u32_e64 v5, v6
	s_cbranch_execz .LBB34_38
; %bb.37:                               ;   in Loop: Header=BB34_2 Depth=1
	ds_store_b32 v7, v28 offset:2048
	ds_store_b32 v0, v28 offset:3072
.LBB34_38:                              ;   in Loop: Header=BB34_2 Depth=1
	s_or_b32 exec_lo, exec_lo, s16
	v_xor_b32_e32 v8, 0x80000000, v12
	v_cmp_ne_u32_e32 vcc_lo, v12, v5
	s_delay_alu instid0(VALU_DEP_2)
	v_lshlrev_b32_e32 v5, 2, v8
	s_and_saveexec_b32 s16, vcc_lo
	s_cbranch_execz .LBB34_40
; %bb.39:                               ;   in Loop: Header=BB34_2 Depth=1
	ds_store_b32 v0, v27 offset:2048
	ds_store_b32 v5, v27 offset:3072
.LBB34_40:                              ;   in Loop: Header=BB34_2 Depth=1
	s_or_b32 exec_lo, exec_lo, s16
	v_xor_b32_e32 v7, 0x80000000, v11
	s_mov_b32 s16, exec_lo
	s_delay_alu instid0(VALU_DEP_1)
	v_lshlrev_b32_e32 v0, 2, v7
	v_cmpx_ne_u32_e64 v11, v12
	s_cbranch_execz .LBB34_42
; %bb.41:                               ;   in Loop: Header=BB34_2 Depth=1
	ds_store_b32 v5, v26 offset:2048
	ds_store_b32 v0, v26 offset:3072
.LBB34_42:                              ;   in Loop: Header=BB34_2 Depth=1
	s_or_b32 exec_lo, exec_lo, s16
	v_xor_b32_e32 v6, 0x80000000, v10
	v_cmp_ne_u32_e32 vcc_lo, v10, v11
	s_delay_alu instid0(VALU_DEP_2)
	v_lshlrev_b32_e32 v11, 2, v6
	s_and_saveexec_b32 s16, vcc_lo
	s_cbranch_execz .LBB34_44
; %bb.43:                               ;   in Loop: Header=BB34_2 Depth=1
	ds_store_b32 v0, v25 offset:2048
	ds_store_b32 v11, v25 offset:3072
.LBB34_44:                              ;   in Loop: Header=BB34_2 Depth=1
	s_or_b32 exec_lo, exec_lo, s16
	v_xor_b32_e32 v5, 0x80000000, v9
	s_mov_b32 s16, exec_lo
	s_delay_alu instid0(VALU_DEP_1)
	v_lshlrev_b32_e32 v0, 2, v5
	v_cmpx_ne_u32_e64 v9, v10
	s_cbranch_execz .LBB34_46
; %bb.45:                               ;   in Loop: Header=BB34_2 Depth=1
	ds_store_b32 v11, v23 offset:2048
	ds_store_b32 v0, v23 offset:3072
.LBB34_46:                              ;   in Loop: Header=BB34_2 Depth=1
	s_or_b32 exec_lo, exec_lo, s16
	s_waitcnt lgkmcnt(0)
	s_barrier
	buffer_gl0_inv
	s_and_saveexec_b32 s16, s11
	s_cbranch_execz .LBB34_49
; %bb.47:                               ;   in Loop: Header=BB34_2 Depth=1
	ds_load_b32 v9, v39
	s_waitcnt lgkmcnt(0)
	v_cmp_ne_u32_e32 vcc_lo, v9, v5
	s_and_b32 exec_lo, exec_lo, vcc_lo
	s_cbranch_execz .LBB34_49
; %bb.48:                               ;   in Loop: Header=BB34_2 Depth=1
	ds_store_b32 v0, v20 offset:2048
	ds_load_b32 v9, v39
	s_waitcnt lgkmcnt(0)
	v_lshlrev_b32_e32 v9, 2, v9
	ds_store_b32 v9, v20 offset:3072
.LBB34_49:                              ;   in Loop: Header=BB34_2 Depth=1
	s_or_b32 exec_lo, exec_lo, s16
	s_waitcnt lgkmcnt(0)
	s_barrier
	buffer_gl0_inv
	s_and_saveexec_b32 s16, s10
	s_cbranch_execz .LBB34_51
; %bb.50:                               ;   in Loop: Header=BB34_2 Depth=1
	ds_store_b32 v0, v15 offset:2048
.LBB34_51:                              ;   in Loop: Header=BB34_2 Depth=1
	s_or_b32 exec_lo, exec_lo, s16
	s_waitcnt lgkmcnt(0)
	s_barrier
	buffer_gl0_inv
	s_and_saveexec_b32 s16, s0
	s_cbranch_execz .LBB34_1
; %bb.52:                               ;   in Loop: Header=BB34_2 Depth=1
	ds_load_2addr_stride64_b32 v[9:10], v37 offset0:8 offset1:12
	ds_load_b32 v0, v34
	s_waitcnt lgkmcnt(1)
	v_sub_nc_u32_e32 v9, v10, v9
	s_waitcnt lgkmcnt(0)
	s_delay_alu instid0(VALU_DEP_1)
	v_add_nc_u32_e32 v0, v9, v0
	ds_store_b32 v34, v0
	s_branch .LBB34_1
.LBB34_53:
	s_and_saveexec_b32 s1, s0
	s_cbranch_execz .LBB34_55
; %bb.54:
	ds_load_b32 v2, v34
	v_lshl_or_b32 v0, s15, 8, v13
	v_mov_b32_e32 v1, 0
	s_delay_alu instid0(VALU_DEP_1) | instskip(NEXT) | instid1(VALU_DEP_1)
	v_lshlrev_b64 v[0:1], 2, v[0:1]
	v_add_co_u32 v0, vcc_lo, s18, v0
	s_delay_alu instid0(VALU_DEP_2)
	v_add_co_ci_u32_e32 v1, vcc_lo, s19, v1, vcc_lo
	s_waitcnt lgkmcnt(0)
	global_store_b32 v[0:1], v2, off
.LBB34_55:
	s_nop 0
	s_sendmsg sendmsg(MSG_DEALLOC_VGPRS)
	s_endpgm
	.section	.rodata,"a",@progbits
	.p2align	6, 0x0
	.amdhsa_kernel _Z6kernelI9histogramILN6hipcub23BlockHistogramAlgorithmE1EEiLj256ELj8ELj256ELj100EEvPKT0_PS4_
		.amdhsa_group_segment_fixed_size 9248
		.amdhsa_private_segment_fixed_size 0
		.amdhsa_kernarg_size 272
		.amdhsa_user_sgpr_count 15
		.amdhsa_user_sgpr_dispatch_ptr 0
		.amdhsa_user_sgpr_queue_ptr 0
		.amdhsa_user_sgpr_kernarg_segment_ptr 1
		.amdhsa_user_sgpr_dispatch_id 0
		.amdhsa_user_sgpr_private_segment_size 0
		.amdhsa_wavefront_size32 1
		.amdhsa_uses_dynamic_stack 0
		.amdhsa_enable_private_segment 0
		.amdhsa_system_sgpr_workgroup_id_x 1
		.amdhsa_system_sgpr_workgroup_id_y 0
		.amdhsa_system_sgpr_workgroup_id_z 0
		.amdhsa_system_sgpr_workgroup_info 0
		.amdhsa_system_vgpr_workitem_id 2
		.amdhsa_next_free_vgpr 69
		.amdhsa_next_free_sgpr 22
		.amdhsa_reserve_vcc 1
		.amdhsa_float_round_mode_32 0
		.amdhsa_float_round_mode_16_64 0
		.amdhsa_float_denorm_mode_32 3
		.amdhsa_float_denorm_mode_16_64 3
		.amdhsa_dx10_clamp 1
		.amdhsa_ieee_mode 1
		.amdhsa_fp16_overflow 0
		.amdhsa_workgroup_processor_mode 1
		.amdhsa_memory_ordered 1
		.amdhsa_forward_progress 0
		.amdhsa_shared_vgpr_count 0
		.amdhsa_exception_fp_ieee_invalid_op 0
		.amdhsa_exception_fp_denorm_src 0
		.amdhsa_exception_fp_ieee_div_zero 0
		.amdhsa_exception_fp_ieee_overflow 0
		.amdhsa_exception_fp_ieee_underflow 0
		.amdhsa_exception_fp_ieee_inexact 0
		.amdhsa_exception_int_div_zero 0
	.end_amdhsa_kernel
	.section	.text._Z6kernelI9histogramILN6hipcub23BlockHistogramAlgorithmE1EEiLj256ELj8ELj256ELj100EEvPKT0_PS4_,"axG",@progbits,_Z6kernelI9histogramILN6hipcub23BlockHistogramAlgorithmE1EEiLj256ELj8ELj256ELj100EEvPKT0_PS4_,comdat
.Lfunc_end34:
	.size	_Z6kernelI9histogramILN6hipcub23BlockHistogramAlgorithmE1EEiLj256ELj8ELj256ELj100EEvPKT0_PS4_, .Lfunc_end34-_Z6kernelI9histogramILN6hipcub23BlockHistogramAlgorithmE1EEiLj256ELj8ELj256ELj100EEvPKT0_PS4_
                                        ; -- End function
	.section	.AMDGPU.csdata,"",@progbits
; Kernel info:
; codeLenInByte = 5080
; NumSgprs: 24
; NumVgprs: 69
; ScratchSize: 0
; MemoryBound: 0
; FloatMode: 240
; IeeeMode: 1
; LDSByteSize: 9248 bytes/workgroup (compile time only)
; SGPRBlocks: 2
; VGPRBlocks: 8
; NumSGPRsForWavesPerEU: 24
; NumVGPRsForWavesPerEU: 69
; Occupancy: 16
; WaveLimiterHint : 0
; COMPUTE_PGM_RSRC2:SCRATCH_EN: 0
; COMPUTE_PGM_RSRC2:USER_SGPR: 15
; COMPUTE_PGM_RSRC2:TRAP_HANDLER: 0
; COMPUTE_PGM_RSRC2:TGID_X_EN: 1
; COMPUTE_PGM_RSRC2:TGID_Y_EN: 0
; COMPUTE_PGM_RSRC2:TGID_Z_EN: 0
; COMPUTE_PGM_RSRC2:TIDIG_COMP_CNT: 2
	.section	.text._Z6kernelI9histogramILN6hipcub23BlockHistogramAlgorithmE1EEiLj256ELj16ELj256ELj100EEvPKT0_PS4_,"axG",@progbits,_Z6kernelI9histogramILN6hipcub23BlockHistogramAlgorithmE1EEiLj256ELj16ELj256ELj100EEvPKT0_PS4_,comdat
	.protected	_Z6kernelI9histogramILN6hipcub23BlockHistogramAlgorithmE1EEiLj256ELj16ELj256ELj100EEvPKT0_PS4_ ; -- Begin function _Z6kernelI9histogramILN6hipcub23BlockHistogramAlgorithmE1EEiLj256ELj16ELj256ELj100EEvPKT0_PS4_
	.globl	_Z6kernelI9histogramILN6hipcub23BlockHistogramAlgorithmE1EEiLj256ELj16ELj256ELj100EEvPKT0_PS4_
	.p2align	8
	.type	_Z6kernelI9histogramILN6hipcub23BlockHistogramAlgorithmE1EEiLj256ELj16ELj256ELj100EEvPKT0_PS4_,@function
_Z6kernelI9histogramILN6hipcub23BlockHistogramAlgorithmE1EEiLj256ELj16ELj256ELj100EEvPKT0_PS4_: ; @_Z6kernelI9histogramILN6hipcub23BlockHistogramAlgorithmE1EEiLj256ELj16ELj256ELj100EEvPKT0_PS4_
; %bb.0:
	v_and_b32_e32 v16, 0x3ff, v0
	s_clause 0x1
	s_load_b128 s[16:19], s[0:1], 0x0
	s_load_b32 s14, s[0:1], 0x1c
	s_mov_b32 s20, 0
	v_dual_mov_b32 v18, 0 :: v_dual_lshlrev_b32 v19, 4, v16
	s_mov_b32 s21, s20
	s_mov_b32 s22, s20
	;; [unrolled: 1-line block ×3, first 2 shown]
	s_delay_alu instid0(VALU_DEP_1)
	v_lshl_or_b32 v17, s15, 12, v19
	v_or_b32_e32 v26, 1, v19
	v_or_b32_e32 v27, 2, v19
	;; [unrolled: 1-line block ×4, first 2 shown]
	v_lshlrev_b64 v[1:2], 2, v[17:18]
	v_or_b32_e32 v30, 5, v19
	v_or_b32_e32 v31, 6, v19
	;; [unrolled: 1-line block ×5, first 2 shown]
	s_waitcnt lgkmcnt(0)
	v_add_co_u32 v5, vcc_lo, s16, v1
	v_add_co_ci_u32_e32 v6, vcc_lo, s17, v2, vcc_lo
	s_lshr_b32 s16, s14, 16
	s_and_b32 s14, s14, 0xffff
	v_or_b32_e32 v35, 10, v19
	s_clause 0x3
	global_load_b128 v[1:4], v[5:6], off
	global_load_b128 v[8:11], v[5:6], off offset:16
	global_load_b128 v[48:51], v[5:6], off offset:32
	;; [unrolled: 1-line block ×3, first 2 shown]
	v_mbcnt_lo_u32_b32 v5, -1, 0
	v_bfe_u32 v6, v0, 10, 10
	v_bfe_u32 v0, v0, 20, 10
	v_mov_b32_e32 v17, 0x1000
	v_or_b32_e32 v36, 11, v19
	v_and_b32_e32 v12, 16, v5
	v_add_nc_u32_e32 v13, -1, v5
	v_and_b32_e32 v7, 15, v5
	v_and_b32_e32 v14, 7, v5
	v_mad_u32_u24 v0, v0, s16, v6
	v_cmp_eq_u32_e64 s6, 0, v12
	v_cmp_gt_i32_e32 vcc_lo, 0, v13
	v_cmp_eq_u32_e64 s2, 0, v7
	v_cmp_lt_u32_e64 s3, 1, v7
	v_cmp_lt_u32_e64 s4, 3, v7
	;; [unrolled: 1-line block ×3, first 2 shown]
	v_cndmask_b32_e32 v7, v13, v5, vcc_lo
	v_lshlrev_b32_e32 v21, 5, v16
	v_and_b32_e32 v15, 0xe0, v16
	v_lshrrev_b32_e32 v12, 3, v16
	v_cmp_eq_u32_e64 s11, 0, v14
	v_cmp_lt_u32_e64 s12, 1, v14
	v_mad_i32_i24 v25, 0xffffffe4, v16, v21
	v_cmp_lt_u32_e64 s13, 3, v14
	v_and_or_b32 v14, 0xe00, v19, v5
	v_cmp_eq_u32_e64 s1, 0, v5
	v_or_b32_e32 v13, v5, v15
	v_mad_u32_u24 v40, v16, 60, v25
	v_mad_u64_u32 v[5:6], null, v0, s14, v[16:17]
	v_or_b32_e32 v15, 31, v15
	v_and_b32_e32 v24, 28, v12
	s_delay_alu instid0(VALU_DEP_4)
	v_mad_i32_i24 v42, 0xffffffc4, v16, v40
	v_lshlrev_b32_e32 v44, 2, v14
	v_cmp_gt_u32_e64 s0, 0x100, v16
	v_cmp_gt_u32_e64 s7, 8, v16
	v_cmp_lt_u32_e64 s8, 31, v16
	v_cmp_eq_u32_e64 s9, 0, v16
	v_cmp_ne_u32_e64 s10, 0, v16
	v_lshl_or_b32 v20, v16, 2, 0x4000
	v_add_nc_u32_e32 v22, 32, v21
	v_lshlrev_b32_e32 v23, 2, v7
	v_or_b32_e32 v37, 12, v19
	v_or_b32_e32 v38, 13, v19
	;; [unrolled: 1-line block ×4, first 2 shown]
	v_lshlrev_b32_e32 v43, 6, v13
	v_cmp_eq_u32_e64 s14, v15, v16
	v_add_nc_u32_e32 v45, -4, v24
	v_add_nc_u32_e32 v46, -4, v42
	v_lshrrev_b32_e32 v47, 5, v5
	s_mov_b32 s17, s20
	s_waitcnt vmcnt(3)
	v_xor_b32_e32 v12, 0x80000000, v1
	v_xor_b32_e32 v13, 0x80000000, v2
	v_xor_b32_e32 v14, 0x80000000, v3
	v_xor_b32_e32 v15, 0x80000000, v4
	s_waitcnt vmcnt(2)
	v_xor_b32_e32 v8, 0x80000000, v8
	v_xor_b32_e32 v9, 0x80000000, v9
	v_xor_b32_e32 v10, 0x80000000, v10
	v_xor_b32_e32 v11, 0x80000000, v11
	;; [unrolled: 5-line block ×4, first 2 shown]
	v_add_nc_u32_e32 v48, 0x400, v44
	s_branch .LBB35_2
.LBB35_1:                               ;   in Loop: Header=BB35_2 Depth=1
	s_or_b32 exec_lo, exec_lo, s16
	s_add_i32 s17, s17, 1
	s_delay_alu instid0(SALU_CYCLE_1)
	s_cmpk_eq_i32 s17, 0x64
	s_cbranch_scc1 .LBB35_85
.LBB35_2:                               ; =>This Loop Header: Depth=1
                                        ;     Child Loop BB35_6 Depth 2
	s_and_saveexec_b32 s16, s0
	s_cbranch_execz .LBB35_4
; %bb.3:                                ;   in Loop: Header=BB35_2 Depth=1
	ds_store_b32 v20, v18
.LBB35_4:                               ;   in Loop: Header=BB35_2 Depth=1
	s_or_b32 exec_lo, exec_lo, s16
	s_waitcnt lgkmcnt(0)
	s_barrier
	buffer_gl0_inv
	ds_store_2addr_b64 v43, v[12:13], v[14:15] offset1:1
	ds_store_2addr_b64 v43, v[8:9], v[10:11] offset0:2 offset1:3
	ds_store_2addr_b64 v43, v[4:5], v[6:7] offset0:4 offset1:5
	;; [unrolled: 1-line block ×3, first 2 shown]
	; wave barrier
	ds_load_2addr_b32 v[14:15], v44 offset1:32
	ds_load_2addr_b32 v[12:13], v44 offset0:64 offset1:96
	ds_load_2addr_b32 v[10:11], v44 offset0:128 offset1:160
	;; [unrolled: 1-line block ×3, first 2 shown]
	ds_load_2addr_b32 v[2:3], v48 offset1:32
	ds_load_2addr_b32 v[4:5], v48 offset0:64 offset1:96
	ds_load_2addr_b32 v[6:7], v48 offset0:128 offset1:160
	;; [unrolled: 1-line block ×3, first 2 shown]
	s_mov_b32 s24, 0
	s_waitcnt lgkmcnt(0)
	s_barrier
	buffer_gl0_inv
	; wave barrier
	s_barrier
	s_branch .LBB35_6
.LBB35_5:                               ;   in Loop: Header=BB35_6 Depth=2
	v_lshlrev_b32_e32 v0, 2, v91
	v_lshlrev_b32_e32 v1, 2, v88
	s_barrier
	buffer_gl0_inv
	ds_store_b32 v0, v51
	v_lshlrev_b32_e32 v0, 2, v85
	v_lshlrev_b32_e32 v2, 2, v82
	;; [unrolled: 1-line block ×4, first 2 shown]
	ds_store_b32 v1, v50
	ds_store_b32 v0, v49
	;; [unrolled: 1-line block ×5, first 2 shown]
	v_lshlrev_b32_e32 v0, 2, v74
	v_lshlrev_b32_e32 v1, 2, v73
	;; [unrolled: 1-line block ×5, first 2 shown]
	ds_store_b32 v0, v55
	ds_store_b32 v1, v60
	ds_store_b32 v2, v62
	ds_store_b32 v3, v64
	ds_store_b32 v4, v63
	v_lshlrev_b32_e32 v0, 2, v69
	v_lshlrev_b32_e32 v1, 2, v68
	;; [unrolled: 1-line block ×5, first 2 shown]
	ds_store_b32 v0, v56
	ds_store_b32 v1, v59
	;; [unrolled: 1-line block ×5, first 2 shown]
	s_waitcnt lgkmcnt(0)
	s_barrier
	buffer_gl0_inv
	ds_load_2addr_b32 v[14:15], v44 offset1:32
	ds_load_2addr_b32 v[12:13], v44 offset0:64 offset1:96
	ds_load_2addr_b32 v[10:11], v44 offset0:128 offset1:160
	;; [unrolled: 1-line block ×3, first 2 shown]
	ds_load_2addr_b32 v[2:3], v48 offset1:32
	ds_load_2addr_b32 v[4:5], v48 offset0:64 offset1:96
	ds_load_2addr_b32 v[6:7], v48 offset0:128 offset1:160
	;; [unrolled: 1-line block ×3, first 2 shown]
	s_add_i32 s24, s24, 8
	s_waitcnt lgkmcnt(0)
	s_barrier
	s_cbranch_execz .LBB35_46
.LBB35_6:                               ;   Parent Loop BB35_2 Depth=1
                                        ; =>  This Inner Loop Header: Depth=2
	v_dual_mov_b32 v51, v14 :: v_dual_mov_b32 v50, v15
	v_dual_mov_b32 v49, v12 :: v_dual_mov_b32 v52, v13
	buffer_gl0_inv
	v_bfe_u32 v12, v51, s24, 1
	v_lshrrev_b32_e32 v13, s24, v51
	v_dual_mov_b32 v53, v10 :: v_dual_mov_b32 v54, v11
	v_mov_b32_e32 v58, v7
	s_delay_alu instid0(VALU_DEP_4) | instskip(NEXT) | instid1(VALU_DEP_4)
	v_add_co_u32 v10, s16, v12, -1
	v_lshlrev_b32_e32 v11, 29, v13
	v_cndmask_b32_e64 v12, 0, 1, s16
	v_lshlrev_b32_e32 v14, 30, v13
	v_dual_mov_b32 v60, v1 :: v_dual_lshlrev_b32 v15, 28, v13
	v_dual_mov_b32 v62, v2 :: v_dual_lshlrev_b32 v55, 27, v13
	s_delay_alu instid0(VALU_DEP_4) | instskip(NEXT) | instid1(VALU_DEP_4)
	v_cmp_ne_u32_e32 vcc_lo, 0, v12
	v_not_b32_e32 v12, v14
	v_cmp_gt_i32_e64 s16, 0, v14
	v_not_b32_e32 v14, v11
	v_lshlrev_b32_e32 v56, 25, v13
	v_xor_b32_e32 v10, vcc_lo, v10
	v_ashrrev_i32_e32 v12, 31, v12
	v_cmp_gt_i32_e32 vcc_lo, 0, v11
	v_not_b32_e32 v11, v15
	v_ashrrev_i32_e32 v14, 31, v14
	v_and_b32_e32 v10, exec_lo, v10
	v_xor_b32_e32 v12, s16, v12
	v_cmp_gt_i32_e64 s16, 0, v15
	v_not_b32_e32 v15, v55
	v_ashrrev_i32_e32 v11, 31, v11
	v_xor_b32_e32 v14, vcc_lo, v14
	v_cmp_gt_i32_e32 vcc_lo, 0, v55
	v_dual_mov_b32 v55, v0 :: v_dual_and_b32 v10, v10, v12
	v_dual_mov_b32 v63, v4 :: v_dual_lshlrev_b32 v12, 26, v13
	v_mov_b32_e32 v59, v6
	v_ashrrev_i32_e32 v15, 31, v15
	v_xor_b32_e32 v11, s16, v11
	v_dual_mov_b32 v57, v8 :: v_dual_and_b32 v10, v10, v14
	v_not_b32_e32 v14, v12
	v_cmp_gt_i32_e64 s16, 0, v12
	v_xor_b32_e32 v12, vcc_lo, v15
	s_delay_alu instid0(VALU_DEP_4) | instskip(SKIP_3) | instid1(VALU_DEP_4)
	v_and_b32_e32 v10, v10, v11
	v_not_b32_e32 v0, v56
	v_ashrrev_i32_e32 v11, 31, v14
	v_dual_mov_b32 v64, v3 :: v_dual_lshlrev_b32 v13, 24, v13
	v_dual_mov_b32 v61, v9 :: v_dual_and_b32 v10, v10, v12
	s_delay_alu instid0(VALU_DEP_3)
	v_xor_b32_e32 v11, s16, v11
	v_cmp_gt_i32_e32 vcc_lo, 0, v56
	v_ashrrev_i32_e32 v0, 31, v0
	v_not_b32_e32 v1, v13
	v_mov_b32_e32 v56, v5
	v_and_b32_e32 v2, v10, v11
	v_bfe_u32 v5, v51, s24, 8
	v_xor_b32_e32 v0, vcc_lo, v0
	v_cmp_gt_i32_e32 vcc_lo, 0, v13
	v_ashrrev_i32_e32 v1, 31, v1
	s_delay_alu instid0(VALU_DEP_3) | instskip(NEXT) | instid1(VALU_DEP_2)
	v_and_b32_e32 v0, v2, v0
	v_xor_b32_e32 v3, vcc_lo, v1
	v_dual_mov_b32 v1, s20 :: v_dual_mov_b32 v2, s21
	s_delay_alu instid0(VALU_DEP_2)
	v_dual_mov_b32 v3, s22 :: v_dual_and_b32 v0, v0, v3
	v_mov_b32_e32 v4, s23
	ds_store_2addr_b64 v21, v[1:2], v[3:4] offset0:4 offset1:5
	ds_store_2addr_b64 v22, v[1:2], v[3:4] offset0:2 offset1:3
	v_mbcnt_lo_u32_b32 v8, v0, 0
	v_lshl_add_u32 v1, v5, 3, v47
	v_cmp_ne_u32_e64 s16, 0, v0
	s_waitcnt lgkmcnt(0)
	s_barrier
	v_cmp_eq_u32_e32 vcc_lo, 0, v8
	v_lshl_add_u32 v9, v1, 2, 32
	buffer_gl0_inv
	; wave barrier
	s_and_b32 s25, s16, vcc_lo
	s_delay_alu instid0(SALU_CYCLE_1)
	s_and_saveexec_b32 s16, s25
	s_cbranch_execz .LBB35_8
; %bb.7:                                ;   in Loop: Header=BB35_6 Depth=2
	v_bcnt_u32_b32 v0, v0, 0
	ds_store_b32 v9, v0
.LBB35_8:                               ;   in Loop: Header=BB35_6 Depth=2
	s_or_b32 exec_lo, exec_lo, s16
	v_bfe_u32 v0, v50, s24, 1
	v_lshrrev_b32_e32 v1, s24, v50
	; wave barrier
	s_delay_alu instid0(VALU_DEP_2) | instskip(NEXT) | instid1(VALU_DEP_1)
	v_add_co_u32 v0, s16, v0, -1
	v_cndmask_b32_e64 v2, 0, 1, s16
	s_delay_alu instid0(VALU_DEP_3)
	v_lshlrev_b32_e32 v3, 30, v1
	v_lshlrev_b32_e32 v4, 29, v1
	;; [unrolled: 1-line block ×4, first 2 shown]
	v_cmp_ne_u32_e32 vcc_lo, 0, v2
	v_not_b32_e32 v2, v3
	v_cmp_gt_i32_e64 s16, 0, v3
	v_not_b32_e32 v3, v4
	v_lshlrev_b32_e32 v7, 26, v1
	v_xor_b32_e32 v0, vcc_lo, v0
	v_ashrrev_i32_e32 v2, 31, v2
	v_cmp_gt_i32_e32 vcc_lo, 0, v4
	v_not_b32_e32 v4, v5
	v_ashrrev_i32_e32 v3, 31, v3
	v_and_b32_e32 v0, exec_lo, v0
	v_xor_b32_e32 v2, s16, v2
	v_cmp_gt_i32_e64 s16, 0, v5
	v_not_b32_e32 v5, v6
	v_ashrrev_i32_e32 v4, 31, v4
	v_xor_b32_e32 v3, vcc_lo, v3
	v_and_b32_e32 v0, v0, v2
	v_cmp_gt_i32_e32 vcc_lo, 0, v6
	v_not_b32_e32 v2, v7
	v_ashrrev_i32_e32 v5, 31, v5
	v_xor_b32_e32 v4, s16, v4
	v_and_b32_e32 v0, v0, v3
	v_lshlrev_b32_e32 v3, 25, v1
	v_cmp_gt_i32_e64 s16, 0, v7
	v_ashrrev_i32_e32 v2, 31, v2
	v_xor_b32_e32 v5, vcc_lo, v5
	v_and_b32_e32 v0, v0, v4
	v_not_b32_e32 v6, v3
	v_lshlrev_b32_e32 v1, 24, v1
	v_bfe_u32 v4, v50, s24, 8
	v_xor_b32_e32 v2, s16, v2
	v_and_b32_e32 v0, v0, v5
	v_cmp_gt_i32_e32 vcc_lo, 0, v3
	v_ashrrev_i32_e32 v3, 31, v6
	v_not_b32_e32 v5, v1
	v_lshlrev_b32_e32 v4, 3, v4
	v_and_b32_e32 v0, v0, v2
	s_delay_alu instid0(VALU_DEP_4) | instskip(SKIP_3) | instid1(VALU_DEP_4)
	v_xor_b32_e32 v2, vcc_lo, v3
	v_cmp_gt_i32_e32 vcc_lo, 0, v1
	v_ashrrev_i32_e32 v1, 31, v5
	v_add_lshl_u32 v3, v4, v47, 2
	v_and_b32_e32 v0, v0, v2
	s_delay_alu instid0(VALU_DEP_3) | instskip(SKIP_3) | instid1(VALU_DEP_1)
	v_xor_b32_e32 v1, vcc_lo, v1
	ds_load_b32 v10, v3 offset:32
	v_add_nc_u32_e32 v12, 32, v3
	; wave barrier
	v_and_b32_e32 v0, v0, v1
	v_mbcnt_lo_u32_b32 v11, v0, 0
	v_cmp_ne_u32_e64 s16, 0, v0
	s_delay_alu instid0(VALU_DEP_2) | instskip(NEXT) | instid1(VALU_DEP_2)
	v_cmp_eq_u32_e32 vcc_lo, 0, v11
	s_and_b32 s25, s16, vcc_lo
	s_delay_alu instid0(SALU_CYCLE_1)
	s_and_saveexec_b32 s16, s25
	s_cbranch_execz .LBB35_10
; %bb.9:                                ;   in Loop: Header=BB35_6 Depth=2
	s_waitcnt lgkmcnt(0)
	v_bcnt_u32_b32 v0, v0, v10
	ds_store_b32 v12, v0
.LBB35_10:                              ;   in Loop: Header=BB35_6 Depth=2
	s_or_b32 exec_lo, exec_lo, s16
	v_bfe_u32 v0, v49, s24, 1
	v_lshrrev_b32_e32 v1, s24, v49
	; wave barrier
	s_delay_alu instid0(VALU_DEP_2) | instskip(NEXT) | instid1(VALU_DEP_1)
	v_add_co_u32 v0, s16, v0, -1
	v_cndmask_b32_e64 v2, 0, 1, s16
	s_delay_alu instid0(VALU_DEP_3)
	v_lshlrev_b32_e32 v3, 30, v1
	v_lshlrev_b32_e32 v4, 29, v1
	;; [unrolled: 1-line block ×4, first 2 shown]
	v_cmp_ne_u32_e32 vcc_lo, 0, v2
	v_not_b32_e32 v2, v3
	v_cmp_gt_i32_e64 s16, 0, v3
	v_not_b32_e32 v3, v4
	v_lshlrev_b32_e32 v7, 26, v1
	v_xor_b32_e32 v0, vcc_lo, v0
	v_ashrrev_i32_e32 v2, 31, v2
	v_cmp_gt_i32_e32 vcc_lo, 0, v4
	v_not_b32_e32 v4, v5
	v_ashrrev_i32_e32 v3, 31, v3
	v_and_b32_e32 v0, exec_lo, v0
	v_xor_b32_e32 v2, s16, v2
	v_cmp_gt_i32_e64 s16, 0, v5
	v_not_b32_e32 v5, v6
	v_ashrrev_i32_e32 v4, 31, v4
	v_xor_b32_e32 v3, vcc_lo, v3
	v_and_b32_e32 v0, v0, v2
	v_cmp_gt_i32_e32 vcc_lo, 0, v6
	v_not_b32_e32 v2, v7
	v_ashrrev_i32_e32 v5, 31, v5
	v_xor_b32_e32 v4, s16, v4
	v_and_b32_e32 v0, v0, v3
	v_lshlrev_b32_e32 v3, 25, v1
	v_cmp_gt_i32_e64 s16, 0, v7
	v_ashrrev_i32_e32 v2, 31, v2
	v_xor_b32_e32 v5, vcc_lo, v5
	v_and_b32_e32 v0, v0, v4
	v_not_b32_e32 v6, v3
	v_lshlrev_b32_e32 v1, 24, v1
	v_bfe_u32 v4, v49, s24, 8
	v_xor_b32_e32 v2, s16, v2
	v_and_b32_e32 v0, v0, v5
	v_cmp_gt_i32_e32 vcc_lo, 0, v3
	v_ashrrev_i32_e32 v3, 31, v6
	v_not_b32_e32 v5, v1
	v_lshlrev_b32_e32 v4, 3, v4
	v_and_b32_e32 v0, v0, v2
	s_delay_alu instid0(VALU_DEP_4) | instskip(SKIP_3) | instid1(VALU_DEP_4)
	v_xor_b32_e32 v2, vcc_lo, v3
	v_cmp_gt_i32_e32 vcc_lo, 0, v1
	v_ashrrev_i32_e32 v1, 31, v5
	v_add_lshl_u32 v3, v4, v47, 2
	v_and_b32_e32 v0, v0, v2
	s_delay_alu instid0(VALU_DEP_3) | instskip(SKIP_3) | instid1(VALU_DEP_1)
	v_xor_b32_e32 v1, vcc_lo, v1
	ds_load_b32 v13, v3 offset:32
	v_add_nc_u32_e32 v15, 32, v3
	; wave barrier
	v_and_b32_e32 v0, v0, v1
	v_mbcnt_lo_u32_b32 v14, v0, 0
	v_cmp_ne_u32_e64 s16, 0, v0
	s_delay_alu instid0(VALU_DEP_2) | instskip(NEXT) | instid1(VALU_DEP_2)
	v_cmp_eq_u32_e32 vcc_lo, 0, v14
	s_and_b32 s25, s16, vcc_lo
	s_delay_alu instid0(SALU_CYCLE_1)
	s_and_saveexec_b32 s16, s25
	s_cbranch_execz .LBB35_12
; %bb.11:                               ;   in Loop: Header=BB35_6 Depth=2
	s_waitcnt lgkmcnt(0)
	v_bcnt_u32_b32 v0, v0, v13
	ds_store_b32 v15, v0
.LBB35_12:                              ;   in Loop: Header=BB35_6 Depth=2
	s_or_b32 exec_lo, exec_lo, s16
	v_bfe_u32 v0, v52, s24, 1
	v_lshrrev_b32_e32 v1, s24, v52
	; wave barrier
	s_delay_alu instid0(VALU_DEP_2) | instskip(NEXT) | instid1(VALU_DEP_1)
	v_add_co_u32 v0, s16, v0, -1
	v_cndmask_b32_e64 v2, 0, 1, s16
	s_delay_alu instid0(VALU_DEP_3)
	v_lshlrev_b32_e32 v3, 30, v1
	v_lshlrev_b32_e32 v4, 29, v1
	;; [unrolled: 1-line block ×4, first 2 shown]
	v_cmp_ne_u32_e32 vcc_lo, 0, v2
	v_not_b32_e32 v2, v3
	v_cmp_gt_i32_e64 s16, 0, v3
	v_not_b32_e32 v3, v4
	v_lshlrev_b32_e32 v7, 26, v1
	v_xor_b32_e32 v0, vcc_lo, v0
	v_ashrrev_i32_e32 v2, 31, v2
	v_cmp_gt_i32_e32 vcc_lo, 0, v4
	v_not_b32_e32 v4, v5
	v_ashrrev_i32_e32 v3, 31, v3
	v_and_b32_e32 v0, exec_lo, v0
	v_xor_b32_e32 v2, s16, v2
	v_cmp_gt_i32_e64 s16, 0, v5
	v_not_b32_e32 v5, v6
	v_ashrrev_i32_e32 v4, 31, v4
	v_xor_b32_e32 v3, vcc_lo, v3
	v_and_b32_e32 v0, v0, v2
	v_cmp_gt_i32_e32 vcc_lo, 0, v6
	v_not_b32_e32 v2, v7
	v_ashrrev_i32_e32 v5, 31, v5
	v_xor_b32_e32 v4, s16, v4
	v_and_b32_e32 v0, v0, v3
	v_lshlrev_b32_e32 v3, 25, v1
	v_cmp_gt_i32_e64 s16, 0, v7
	v_ashrrev_i32_e32 v2, 31, v2
	v_xor_b32_e32 v5, vcc_lo, v5
	v_and_b32_e32 v0, v0, v4
	v_not_b32_e32 v6, v3
	v_lshlrev_b32_e32 v1, 24, v1
	v_bfe_u32 v4, v52, s24, 8
	v_xor_b32_e32 v2, s16, v2
	v_and_b32_e32 v0, v0, v5
	v_cmp_gt_i32_e32 vcc_lo, 0, v3
	v_ashrrev_i32_e32 v3, 31, v6
	v_not_b32_e32 v5, v1
	v_lshlrev_b32_e32 v4, 3, v4
	v_and_b32_e32 v0, v0, v2
	s_delay_alu instid0(VALU_DEP_4) | instskip(SKIP_3) | instid1(VALU_DEP_4)
	v_xor_b32_e32 v2, vcc_lo, v3
	v_cmp_gt_i32_e32 vcc_lo, 0, v1
	v_ashrrev_i32_e32 v1, 31, v5
	v_add_lshl_u32 v3, v4, v47, 2
	v_and_b32_e32 v0, v0, v2
	s_delay_alu instid0(VALU_DEP_3) | instskip(SKIP_3) | instid1(VALU_DEP_1)
	v_xor_b32_e32 v1, vcc_lo, v1
	ds_load_b32 v65, v3 offset:32
	v_add_nc_u32_e32 v67, 32, v3
	; wave barrier
	v_and_b32_e32 v0, v0, v1
	v_mbcnt_lo_u32_b32 v66, v0, 0
	v_cmp_ne_u32_e64 s16, 0, v0
	s_delay_alu instid0(VALU_DEP_2) | instskip(NEXT) | instid1(VALU_DEP_2)
	v_cmp_eq_u32_e32 vcc_lo, 0, v66
	s_and_b32 s25, s16, vcc_lo
	s_delay_alu instid0(SALU_CYCLE_1)
	s_and_saveexec_b32 s16, s25
	s_cbranch_execz .LBB35_14
; %bb.13:                               ;   in Loop: Header=BB35_6 Depth=2
	s_waitcnt lgkmcnt(0)
	v_bcnt_u32_b32 v0, v0, v65
	ds_store_b32 v67, v0
.LBB35_14:                              ;   in Loop: Header=BB35_6 Depth=2
	s_or_b32 exec_lo, exec_lo, s16
	v_bfe_u32 v0, v53, s24, 1
	v_lshrrev_b32_e32 v1, s24, v53
	; wave barrier
	s_delay_alu instid0(VALU_DEP_2) | instskip(NEXT) | instid1(VALU_DEP_1)
	v_add_co_u32 v0, s16, v0, -1
	v_cndmask_b32_e64 v2, 0, 1, s16
	s_delay_alu instid0(VALU_DEP_3)
	v_lshlrev_b32_e32 v3, 30, v1
	v_lshlrev_b32_e32 v4, 29, v1
	;; [unrolled: 1-line block ×4, first 2 shown]
	v_cmp_ne_u32_e32 vcc_lo, 0, v2
	v_not_b32_e32 v2, v3
	v_cmp_gt_i32_e64 s16, 0, v3
	v_not_b32_e32 v3, v4
	v_lshlrev_b32_e32 v7, 26, v1
	v_xor_b32_e32 v0, vcc_lo, v0
	v_ashrrev_i32_e32 v2, 31, v2
	v_cmp_gt_i32_e32 vcc_lo, 0, v4
	v_not_b32_e32 v4, v5
	v_ashrrev_i32_e32 v3, 31, v3
	v_and_b32_e32 v0, exec_lo, v0
	v_xor_b32_e32 v2, s16, v2
	v_cmp_gt_i32_e64 s16, 0, v5
	v_not_b32_e32 v5, v6
	v_ashrrev_i32_e32 v4, 31, v4
	v_xor_b32_e32 v3, vcc_lo, v3
	v_and_b32_e32 v0, v0, v2
	v_cmp_gt_i32_e32 vcc_lo, 0, v6
	v_not_b32_e32 v2, v7
	v_ashrrev_i32_e32 v5, 31, v5
	v_xor_b32_e32 v4, s16, v4
	v_and_b32_e32 v0, v0, v3
	v_lshlrev_b32_e32 v3, 25, v1
	v_cmp_gt_i32_e64 s16, 0, v7
	v_ashrrev_i32_e32 v2, 31, v2
	v_xor_b32_e32 v5, vcc_lo, v5
	v_and_b32_e32 v0, v0, v4
	v_not_b32_e32 v6, v3
	v_lshlrev_b32_e32 v1, 24, v1
	v_bfe_u32 v4, v53, s24, 8
	v_xor_b32_e32 v2, s16, v2
	v_and_b32_e32 v0, v0, v5
	v_cmp_gt_i32_e32 vcc_lo, 0, v3
	v_ashrrev_i32_e32 v3, 31, v6
	v_not_b32_e32 v5, v1
	v_lshlrev_b32_e32 v4, 3, v4
	v_and_b32_e32 v0, v0, v2
	s_delay_alu instid0(VALU_DEP_4) | instskip(SKIP_3) | instid1(VALU_DEP_4)
	v_xor_b32_e32 v2, vcc_lo, v3
	v_cmp_gt_i32_e32 vcc_lo, 0, v1
	v_ashrrev_i32_e32 v1, 31, v5
	v_add_lshl_u32 v3, v4, v47, 2
	v_and_b32_e32 v0, v0, v2
	s_delay_alu instid0(VALU_DEP_3) | instskip(SKIP_3) | instid1(VALU_DEP_1)
	v_xor_b32_e32 v1, vcc_lo, v1
	ds_load_b32 v68, v3 offset:32
	v_add_nc_u32_e32 v70, 32, v3
	; wave barrier
	v_and_b32_e32 v0, v0, v1
	v_mbcnt_lo_u32_b32 v69, v0, 0
	v_cmp_ne_u32_e64 s16, 0, v0
	s_delay_alu instid0(VALU_DEP_2) | instskip(NEXT) | instid1(VALU_DEP_2)
	v_cmp_eq_u32_e32 vcc_lo, 0, v69
	s_and_b32 s25, s16, vcc_lo
	s_delay_alu instid0(SALU_CYCLE_1)
	s_and_saveexec_b32 s16, s25
	s_cbranch_execz .LBB35_16
; %bb.15:                               ;   in Loop: Header=BB35_6 Depth=2
	s_waitcnt lgkmcnt(0)
	v_bcnt_u32_b32 v0, v0, v68
	ds_store_b32 v70, v0
.LBB35_16:                              ;   in Loop: Header=BB35_6 Depth=2
	s_or_b32 exec_lo, exec_lo, s16
	v_bfe_u32 v0, v54, s24, 1
	v_lshrrev_b32_e32 v1, s24, v54
	; wave barrier
	s_delay_alu instid0(VALU_DEP_2) | instskip(NEXT) | instid1(VALU_DEP_1)
	v_add_co_u32 v0, s16, v0, -1
	v_cndmask_b32_e64 v2, 0, 1, s16
	s_delay_alu instid0(VALU_DEP_3)
	v_lshlrev_b32_e32 v3, 30, v1
	v_lshlrev_b32_e32 v4, 29, v1
	;; [unrolled: 1-line block ×4, first 2 shown]
	v_cmp_ne_u32_e32 vcc_lo, 0, v2
	v_not_b32_e32 v2, v3
	v_cmp_gt_i32_e64 s16, 0, v3
	v_not_b32_e32 v3, v4
	v_lshlrev_b32_e32 v7, 26, v1
	v_xor_b32_e32 v0, vcc_lo, v0
	v_ashrrev_i32_e32 v2, 31, v2
	v_cmp_gt_i32_e32 vcc_lo, 0, v4
	v_not_b32_e32 v4, v5
	v_ashrrev_i32_e32 v3, 31, v3
	v_and_b32_e32 v0, exec_lo, v0
	v_xor_b32_e32 v2, s16, v2
	v_cmp_gt_i32_e64 s16, 0, v5
	v_not_b32_e32 v5, v6
	v_ashrrev_i32_e32 v4, 31, v4
	v_xor_b32_e32 v3, vcc_lo, v3
	v_and_b32_e32 v0, v0, v2
	v_cmp_gt_i32_e32 vcc_lo, 0, v6
	v_not_b32_e32 v2, v7
	v_ashrrev_i32_e32 v5, 31, v5
	v_xor_b32_e32 v4, s16, v4
	v_and_b32_e32 v0, v0, v3
	v_lshlrev_b32_e32 v3, 25, v1
	v_cmp_gt_i32_e64 s16, 0, v7
	v_ashrrev_i32_e32 v2, 31, v2
	v_xor_b32_e32 v5, vcc_lo, v5
	v_and_b32_e32 v0, v0, v4
	v_not_b32_e32 v6, v3
	v_lshlrev_b32_e32 v1, 24, v1
	v_bfe_u32 v4, v54, s24, 8
	v_xor_b32_e32 v2, s16, v2
	v_and_b32_e32 v0, v0, v5
	v_cmp_gt_i32_e32 vcc_lo, 0, v3
	v_ashrrev_i32_e32 v3, 31, v6
	v_not_b32_e32 v5, v1
	v_lshlrev_b32_e32 v4, 3, v4
	v_and_b32_e32 v0, v0, v2
	s_delay_alu instid0(VALU_DEP_4) | instskip(SKIP_3) | instid1(VALU_DEP_4)
	v_xor_b32_e32 v2, vcc_lo, v3
	v_cmp_gt_i32_e32 vcc_lo, 0, v1
	v_ashrrev_i32_e32 v1, 31, v5
	v_add_lshl_u32 v3, v4, v47, 2
	v_and_b32_e32 v0, v0, v2
	s_delay_alu instid0(VALU_DEP_3) | instskip(SKIP_3) | instid1(VALU_DEP_1)
	v_xor_b32_e32 v1, vcc_lo, v1
	ds_load_b32 v71, v3 offset:32
	v_add_nc_u32_e32 v73, 32, v3
	; wave barrier
	v_and_b32_e32 v0, v0, v1
	v_mbcnt_lo_u32_b32 v72, v0, 0
	v_cmp_ne_u32_e64 s16, 0, v0
	s_delay_alu instid0(VALU_DEP_2) | instskip(NEXT) | instid1(VALU_DEP_2)
	v_cmp_eq_u32_e32 vcc_lo, 0, v72
	s_and_b32 s25, s16, vcc_lo
	s_delay_alu instid0(SALU_CYCLE_1)
	s_and_saveexec_b32 s16, s25
	s_cbranch_execz .LBB35_18
; %bb.17:                               ;   in Loop: Header=BB35_6 Depth=2
	s_waitcnt lgkmcnt(0)
	v_bcnt_u32_b32 v0, v0, v71
	ds_store_b32 v73, v0
.LBB35_18:                              ;   in Loop: Header=BB35_6 Depth=2
	s_or_b32 exec_lo, exec_lo, s16
	v_bfe_u32 v0, v55, s24, 1
	v_lshrrev_b32_e32 v1, s24, v55
	; wave barrier
	s_delay_alu instid0(VALU_DEP_2) | instskip(NEXT) | instid1(VALU_DEP_1)
	v_add_co_u32 v0, s16, v0, -1
	v_cndmask_b32_e64 v2, 0, 1, s16
	s_delay_alu instid0(VALU_DEP_3)
	v_lshlrev_b32_e32 v3, 30, v1
	v_lshlrev_b32_e32 v4, 29, v1
	;; [unrolled: 1-line block ×4, first 2 shown]
	v_cmp_ne_u32_e32 vcc_lo, 0, v2
	v_not_b32_e32 v2, v3
	v_cmp_gt_i32_e64 s16, 0, v3
	v_not_b32_e32 v3, v4
	v_lshlrev_b32_e32 v7, 26, v1
	v_xor_b32_e32 v0, vcc_lo, v0
	v_ashrrev_i32_e32 v2, 31, v2
	v_cmp_gt_i32_e32 vcc_lo, 0, v4
	v_not_b32_e32 v4, v5
	v_ashrrev_i32_e32 v3, 31, v3
	v_and_b32_e32 v0, exec_lo, v0
	v_xor_b32_e32 v2, s16, v2
	v_cmp_gt_i32_e64 s16, 0, v5
	v_not_b32_e32 v5, v6
	v_ashrrev_i32_e32 v4, 31, v4
	v_xor_b32_e32 v3, vcc_lo, v3
	v_and_b32_e32 v0, v0, v2
	v_cmp_gt_i32_e32 vcc_lo, 0, v6
	v_not_b32_e32 v2, v7
	v_ashrrev_i32_e32 v5, 31, v5
	v_xor_b32_e32 v4, s16, v4
	v_and_b32_e32 v0, v0, v3
	v_lshlrev_b32_e32 v3, 25, v1
	v_cmp_gt_i32_e64 s16, 0, v7
	v_ashrrev_i32_e32 v2, 31, v2
	v_xor_b32_e32 v5, vcc_lo, v5
	v_and_b32_e32 v0, v0, v4
	v_not_b32_e32 v6, v3
	v_lshlrev_b32_e32 v1, 24, v1
	v_bfe_u32 v4, v55, s24, 8
	v_xor_b32_e32 v2, s16, v2
	v_and_b32_e32 v0, v0, v5
	v_cmp_gt_i32_e32 vcc_lo, 0, v3
	v_ashrrev_i32_e32 v3, 31, v6
	v_not_b32_e32 v5, v1
	v_lshlrev_b32_e32 v4, 3, v4
	v_and_b32_e32 v0, v0, v2
	s_delay_alu instid0(VALU_DEP_4) | instskip(SKIP_3) | instid1(VALU_DEP_4)
	v_xor_b32_e32 v2, vcc_lo, v3
	v_cmp_gt_i32_e32 vcc_lo, 0, v1
	v_ashrrev_i32_e32 v1, 31, v5
	v_add_lshl_u32 v3, v4, v47, 2
	v_and_b32_e32 v0, v0, v2
	s_delay_alu instid0(VALU_DEP_3) | instskip(SKIP_3) | instid1(VALU_DEP_1)
	v_xor_b32_e32 v1, vcc_lo, v1
	ds_load_b32 v74, v3 offset:32
	v_add_nc_u32_e32 v76, 32, v3
	; wave barrier
	v_and_b32_e32 v0, v0, v1
	v_mbcnt_lo_u32_b32 v75, v0, 0
	v_cmp_ne_u32_e64 s16, 0, v0
	s_delay_alu instid0(VALU_DEP_2) | instskip(NEXT) | instid1(VALU_DEP_2)
	v_cmp_eq_u32_e32 vcc_lo, 0, v75
	s_and_b32 s25, s16, vcc_lo
	s_delay_alu instid0(SALU_CYCLE_1)
	s_and_saveexec_b32 s16, s25
	s_cbranch_execz .LBB35_20
; %bb.19:                               ;   in Loop: Header=BB35_6 Depth=2
	s_waitcnt lgkmcnt(0)
	v_bcnt_u32_b32 v0, v0, v74
	ds_store_b32 v76, v0
.LBB35_20:                              ;   in Loop: Header=BB35_6 Depth=2
	s_or_b32 exec_lo, exec_lo, s16
	v_bfe_u32 v0, v60, s24, 1
	v_lshrrev_b32_e32 v1, s24, v60
	; wave barrier
	s_delay_alu instid0(VALU_DEP_2) | instskip(NEXT) | instid1(VALU_DEP_1)
	v_add_co_u32 v0, s16, v0, -1
	v_cndmask_b32_e64 v2, 0, 1, s16
	s_delay_alu instid0(VALU_DEP_3)
	v_lshlrev_b32_e32 v3, 30, v1
	v_lshlrev_b32_e32 v4, 29, v1
	v_lshlrev_b32_e32 v5, 28, v1
	v_lshlrev_b32_e32 v6, 27, v1
	v_cmp_ne_u32_e32 vcc_lo, 0, v2
	v_not_b32_e32 v2, v3
	v_cmp_gt_i32_e64 s16, 0, v3
	v_not_b32_e32 v3, v4
	v_lshlrev_b32_e32 v7, 26, v1
	v_xor_b32_e32 v0, vcc_lo, v0
	v_ashrrev_i32_e32 v2, 31, v2
	v_cmp_gt_i32_e32 vcc_lo, 0, v4
	v_not_b32_e32 v4, v5
	v_ashrrev_i32_e32 v3, 31, v3
	v_and_b32_e32 v0, exec_lo, v0
	v_xor_b32_e32 v2, s16, v2
	v_cmp_gt_i32_e64 s16, 0, v5
	v_not_b32_e32 v5, v6
	v_ashrrev_i32_e32 v4, 31, v4
	v_xor_b32_e32 v3, vcc_lo, v3
	v_and_b32_e32 v0, v0, v2
	v_cmp_gt_i32_e32 vcc_lo, 0, v6
	v_not_b32_e32 v2, v7
	v_ashrrev_i32_e32 v5, 31, v5
	v_xor_b32_e32 v4, s16, v4
	v_and_b32_e32 v0, v0, v3
	v_lshlrev_b32_e32 v3, 25, v1
	v_cmp_gt_i32_e64 s16, 0, v7
	v_ashrrev_i32_e32 v2, 31, v2
	v_xor_b32_e32 v5, vcc_lo, v5
	v_and_b32_e32 v0, v0, v4
	v_not_b32_e32 v6, v3
	v_lshlrev_b32_e32 v1, 24, v1
	v_bfe_u32 v4, v60, s24, 8
	v_xor_b32_e32 v2, s16, v2
	v_and_b32_e32 v0, v0, v5
	v_cmp_gt_i32_e32 vcc_lo, 0, v3
	v_ashrrev_i32_e32 v3, 31, v6
	v_not_b32_e32 v5, v1
	v_lshlrev_b32_e32 v4, 3, v4
	v_and_b32_e32 v0, v0, v2
	s_delay_alu instid0(VALU_DEP_4) | instskip(SKIP_3) | instid1(VALU_DEP_4)
	v_xor_b32_e32 v2, vcc_lo, v3
	v_cmp_gt_i32_e32 vcc_lo, 0, v1
	v_ashrrev_i32_e32 v1, 31, v5
	v_add_lshl_u32 v3, v4, v47, 2
	v_and_b32_e32 v0, v0, v2
	s_delay_alu instid0(VALU_DEP_3) | instskip(SKIP_3) | instid1(VALU_DEP_1)
	v_xor_b32_e32 v1, vcc_lo, v1
	ds_load_b32 v77, v3 offset:32
	v_add_nc_u32_e32 v79, 32, v3
	; wave barrier
	v_and_b32_e32 v0, v0, v1
	v_mbcnt_lo_u32_b32 v78, v0, 0
	v_cmp_ne_u32_e64 s16, 0, v0
	s_delay_alu instid0(VALU_DEP_2) | instskip(NEXT) | instid1(VALU_DEP_2)
	v_cmp_eq_u32_e32 vcc_lo, 0, v78
	s_and_b32 s25, s16, vcc_lo
	s_delay_alu instid0(SALU_CYCLE_1)
	s_and_saveexec_b32 s16, s25
	s_cbranch_execz .LBB35_22
; %bb.21:                               ;   in Loop: Header=BB35_6 Depth=2
	s_waitcnt lgkmcnt(0)
	v_bcnt_u32_b32 v0, v0, v77
	ds_store_b32 v79, v0
.LBB35_22:                              ;   in Loop: Header=BB35_6 Depth=2
	s_or_b32 exec_lo, exec_lo, s16
	v_bfe_u32 v0, v62, s24, 1
	v_lshrrev_b32_e32 v1, s24, v62
	; wave barrier
	s_delay_alu instid0(VALU_DEP_2) | instskip(NEXT) | instid1(VALU_DEP_1)
	v_add_co_u32 v0, s16, v0, -1
	v_cndmask_b32_e64 v2, 0, 1, s16
	s_delay_alu instid0(VALU_DEP_3)
	v_lshlrev_b32_e32 v3, 30, v1
	v_lshlrev_b32_e32 v4, 29, v1
	v_lshlrev_b32_e32 v5, 28, v1
	v_lshlrev_b32_e32 v6, 27, v1
	v_cmp_ne_u32_e32 vcc_lo, 0, v2
	v_not_b32_e32 v2, v3
	v_cmp_gt_i32_e64 s16, 0, v3
	v_not_b32_e32 v3, v4
	v_lshlrev_b32_e32 v7, 26, v1
	v_xor_b32_e32 v0, vcc_lo, v0
	v_ashrrev_i32_e32 v2, 31, v2
	v_cmp_gt_i32_e32 vcc_lo, 0, v4
	v_not_b32_e32 v4, v5
	v_ashrrev_i32_e32 v3, 31, v3
	v_and_b32_e32 v0, exec_lo, v0
	v_xor_b32_e32 v2, s16, v2
	v_cmp_gt_i32_e64 s16, 0, v5
	v_not_b32_e32 v5, v6
	v_ashrrev_i32_e32 v4, 31, v4
	v_xor_b32_e32 v3, vcc_lo, v3
	v_and_b32_e32 v0, v0, v2
	v_cmp_gt_i32_e32 vcc_lo, 0, v6
	v_not_b32_e32 v2, v7
	v_ashrrev_i32_e32 v5, 31, v5
	v_xor_b32_e32 v4, s16, v4
	v_and_b32_e32 v0, v0, v3
	v_lshlrev_b32_e32 v3, 25, v1
	v_cmp_gt_i32_e64 s16, 0, v7
	v_ashrrev_i32_e32 v2, 31, v2
	v_xor_b32_e32 v5, vcc_lo, v5
	v_and_b32_e32 v0, v0, v4
	v_not_b32_e32 v6, v3
	v_lshlrev_b32_e32 v1, 24, v1
	v_bfe_u32 v4, v62, s24, 8
	v_xor_b32_e32 v2, s16, v2
	v_and_b32_e32 v0, v0, v5
	v_cmp_gt_i32_e32 vcc_lo, 0, v3
	v_ashrrev_i32_e32 v3, 31, v6
	v_not_b32_e32 v5, v1
	v_lshlrev_b32_e32 v4, 3, v4
	v_and_b32_e32 v0, v0, v2
	s_delay_alu instid0(VALU_DEP_4) | instskip(SKIP_3) | instid1(VALU_DEP_4)
	v_xor_b32_e32 v2, vcc_lo, v3
	v_cmp_gt_i32_e32 vcc_lo, 0, v1
	v_ashrrev_i32_e32 v1, 31, v5
	v_add_lshl_u32 v3, v4, v47, 2
	v_and_b32_e32 v0, v0, v2
	s_delay_alu instid0(VALU_DEP_3) | instskip(SKIP_3) | instid1(VALU_DEP_1)
	v_xor_b32_e32 v1, vcc_lo, v1
	ds_load_b32 v80, v3 offset:32
	v_add_nc_u32_e32 v82, 32, v3
	; wave barrier
	v_and_b32_e32 v0, v0, v1
	v_mbcnt_lo_u32_b32 v81, v0, 0
	v_cmp_ne_u32_e64 s16, 0, v0
	s_delay_alu instid0(VALU_DEP_2) | instskip(NEXT) | instid1(VALU_DEP_2)
	v_cmp_eq_u32_e32 vcc_lo, 0, v81
	s_and_b32 s25, s16, vcc_lo
	s_delay_alu instid0(SALU_CYCLE_1)
	s_and_saveexec_b32 s16, s25
	s_cbranch_execz .LBB35_24
; %bb.23:                               ;   in Loop: Header=BB35_6 Depth=2
	s_waitcnt lgkmcnt(0)
	v_bcnt_u32_b32 v0, v0, v80
	ds_store_b32 v82, v0
.LBB35_24:                              ;   in Loop: Header=BB35_6 Depth=2
	s_or_b32 exec_lo, exec_lo, s16
	v_bfe_u32 v0, v64, s24, 1
	v_lshrrev_b32_e32 v1, s24, v64
	; wave barrier
	s_delay_alu instid0(VALU_DEP_2) | instskip(NEXT) | instid1(VALU_DEP_1)
	v_add_co_u32 v0, s16, v0, -1
	v_cndmask_b32_e64 v2, 0, 1, s16
	s_delay_alu instid0(VALU_DEP_3)
	v_lshlrev_b32_e32 v3, 30, v1
	v_lshlrev_b32_e32 v4, 29, v1
	;; [unrolled: 1-line block ×4, first 2 shown]
	v_cmp_ne_u32_e32 vcc_lo, 0, v2
	v_not_b32_e32 v2, v3
	v_cmp_gt_i32_e64 s16, 0, v3
	v_not_b32_e32 v3, v4
	v_lshlrev_b32_e32 v7, 26, v1
	v_xor_b32_e32 v0, vcc_lo, v0
	v_ashrrev_i32_e32 v2, 31, v2
	v_cmp_gt_i32_e32 vcc_lo, 0, v4
	v_not_b32_e32 v4, v5
	v_ashrrev_i32_e32 v3, 31, v3
	v_and_b32_e32 v0, exec_lo, v0
	v_xor_b32_e32 v2, s16, v2
	v_cmp_gt_i32_e64 s16, 0, v5
	v_not_b32_e32 v5, v6
	v_ashrrev_i32_e32 v4, 31, v4
	v_xor_b32_e32 v3, vcc_lo, v3
	v_and_b32_e32 v0, v0, v2
	v_cmp_gt_i32_e32 vcc_lo, 0, v6
	v_not_b32_e32 v2, v7
	v_ashrrev_i32_e32 v5, 31, v5
	v_xor_b32_e32 v4, s16, v4
	v_and_b32_e32 v0, v0, v3
	v_lshlrev_b32_e32 v3, 25, v1
	v_cmp_gt_i32_e64 s16, 0, v7
	v_ashrrev_i32_e32 v2, 31, v2
	v_xor_b32_e32 v5, vcc_lo, v5
	v_and_b32_e32 v0, v0, v4
	v_not_b32_e32 v6, v3
	v_lshlrev_b32_e32 v1, 24, v1
	v_bfe_u32 v4, v64, s24, 8
	v_xor_b32_e32 v2, s16, v2
	v_and_b32_e32 v0, v0, v5
	v_cmp_gt_i32_e32 vcc_lo, 0, v3
	v_ashrrev_i32_e32 v3, 31, v6
	v_not_b32_e32 v5, v1
	v_lshlrev_b32_e32 v4, 3, v4
	v_and_b32_e32 v0, v0, v2
	s_delay_alu instid0(VALU_DEP_4) | instskip(SKIP_3) | instid1(VALU_DEP_4)
	v_xor_b32_e32 v2, vcc_lo, v3
	v_cmp_gt_i32_e32 vcc_lo, 0, v1
	v_ashrrev_i32_e32 v1, 31, v5
	v_add_lshl_u32 v3, v4, v47, 2
	v_and_b32_e32 v0, v0, v2
	s_delay_alu instid0(VALU_DEP_3) | instskip(SKIP_3) | instid1(VALU_DEP_1)
	v_xor_b32_e32 v1, vcc_lo, v1
	ds_load_b32 v83, v3 offset:32
	v_add_nc_u32_e32 v85, 32, v3
	; wave barrier
	v_and_b32_e32 v0, v0, v1
	v_mbcnt_lo_u32_b32 v84, v0, 0
	v_cmp_ne_u32_e64 s16, 0, v0
	s_delay_alu instid0(VALU_DEP_2) | instskip(NEXT) | instid1(VALU_DEP_2)
	v_cmp_eq_u32_e32 vcc_lo, 0, v84
	s_and_b32 s25, s16, vcc_lo
	s_delay_alu instid0(SALU_CYCLE_1)
	s_and_saveexec_b32 s16, s25
	s_cbranch_execz .LBB35_26
; %bb.25:                               ;   in Loop: Header=BB35_6 Depth=2
	s_waitcnt lgkmcnt(0)
	v_bcnt_u32_b32 v0, v0, v83
	ds_store_b32 v85, v0
.LBB35_26:                              ;   in Loop: Header=BB35_6 Depth=2
	s_or_b32 exec_lo, exec_lo, s16
	v_bfe_u32 v0, v63, s24, 1
	v_lshrrev_b32_e32 v1, s24, v63
	; wave barrier
	s_delay_alu instid0(VALU_DEP_2) | instskip(NEXT) | instid1(VALU_DEP_1)
	v_add_co_u32 v0, s16, v0, -1
	v_cndmask_b32_e64 v2, 0, 1, s16
	s_delay_alu instid0(VALU_DEP_3)
	v_lshlrev_b32_e32 v3, 30, v1
	v_lshlrev_b32_e32 v4, 29, v1
	;; [unrolled: 1-line block ×4, first 2 shown]
	v_cmp_ne_u32_e32 vcc_lo, 0, v2
	v_not_b32_e32 v2, v3
	v_cmp_gt_i32_e64 s16, 0, v3
	v_not_b32_e32 v3, v4
	v_lshlrev_b32_e32 v7, 26, v1
	v_xor_b32_e32 v0, vcc_lo, v0
	v_ashrrev_i32_e32 v2, 31, v2
	v_cmp_gt_i32_e32 vcc_lo, 0, v4
	v_not_b32_e32 v4, v5
	v_ashrrev_i32_e32 v3, 31, v3
	v_and_b32_e32 v0, exec_lo, v0
	v_xor_b32_e32 v2, s16, v2
	v_cmp_gt_i32_e64 s16, 0, v5
	v_not_b32_e32 v5, v6
	v_ashrrev_i32_e32 v4, 31, v4
	v_xor_b32_e32 v3, vcc_lo, v3
	v_and_b32_e32 v0, v0, v2
	v_cmp_gt_i32_e32 vcc_lo, 0, v6
	v_not_b32_e32 v2, v7
	v_ashrrev_i32_e32 v5, 31, v5
	v_xor_b32_e32 v4, s16, v4
	v_and_b32_e32 v0, v0, v3
	v_lshlrev_b32_e32 v3, 25, v1
	v_cmp_gt_i32_e64 s16, 0, v7
	v_ashrrev_i32_e32 v2, 31, v2
	v_xor_b32_e32 v5, vcc_lo, v5
	v_and_b32_e32 v0, v0, v4
	v_not_b32_e32 v6, v3
	v_lshlrev_b32_e32 v1, 24, v1
	v_bfe_u32 v4, v63, s24, 8
	v_xor_b32_e32 v2, s16, v2
	v_and_b32_e32 v0, v0, v5
	v_cmp_gt_i32_e32 vcc_lo, 0, v3
	v_ashrrev_i32_e32 v3, 31, v6
	v_not_b32_e32 v5, v1
	v_lshlrev_b32_e32 v4, 3, v4
	v_and_b32_e32 v0, v0, v2
	s_delay_alu instid0(VALU_DEP_4) | instskip(SKIP_3) | instid1(VALU_DEP_4)
	v_xor_b32_e32 v2, vcc_lo, v3
	v_cmp_gt_i32_e32 vcc_lo, 0, v1
	v_ashrrev_i32_e32 v1, 31, v5
	v_add_lshl_u32 v3, v4, v47, 2
	v_and_b32_e32 v0, v0, v2
	s_delay_alu instid0(VALU_DEP_3) | instskip(SKIP_3) | instid1(VALU_DEP_1)
	v_xor_b32_e32 v1, vcc_lo, v1
	ds_load_b32 v86, v3 offset:32
	v_add_nc_u32_e32 v88, 32, v3
	; wave barrier
	v_and_b32_e32 v0, v0, v1
	v_mbcnt_lo_u32_b32 v87, v0, 0
	v_cmp_ne_u32_e64 s16, 0, v0
	s_delay_alu instid0(VALU_DEP_2) | instskip(NEXT) | instid1(VALU_DEP_2)
	v_cmp_eq_u32_e32 vcc_lo, 0, v87
	s_and_b32 s25, s16, vcc_lo
	s_delay_alu instid0(SALU_CYCLE_1)
	s_and_saveexec_b32 s16, s25
	s_cbranch_execz .LBB35_28
; %bb.27:                               ;   in Loop: Header=BB35_6 Depth=2
	s_waitcnt lgkmcnt(0)
	v_bcnt_u32_b32 v0, v0, v86
	ds_store_b32 v88, v0
.LBB35_28:                              ;   in Loop: Header=BB35_6 Depth=2
	s_or_b32 exec_lo, exec_lo, s16
	v_bfe_u32 v0, v56, s24, 1
	v_lshrrev_b32_e32 v1, s24, v56
	; wave barrier
	s_delay_alu instid0(VALU_DEP_2) | instskip(NEXT) | instid1(VALU_DEP_1)
	v_add_co_u32 v0, s16, v0, -1
	v_cndmask_b32_e64 v2, 0, 1, s16
	s_delay_alu instid0(VALU_DEP_3)
	v_lshlrev_b32_e32 v3, 30, v1
	v_lshlrev_b32_e32 v4, 29, v1
	;; [unrolled: 1-line block ×4, first 2 shown]
	v_cmp_ne_u32_e32 vcc_lo, 0, v2
	v_not_b32_e32 v2, v3
	v_cmp_gt_i32_e64 s16, 0, v3
	v_not_b32_e32 v3, v4
	v_lshlrev_b32_e32 v7, 26, v1
	v_xor_b32_e32 v0, vcc_lo, v0
	v_ashrrev_i32_e32 v2, 31, v2
	v_cmp_gt_i32_e32 vcc_lo, 0, v4
	v_not_b32_e32 v4, v5
	v_ashrrev_i32_e32 v3, 31, v3
	v_and_b32_e32 v0, exec_lo, v0
	v_xor_b32_e32 v2, s16, v2
	v_cmp_gt_i32_e64 s16, 0, v5
	v_not_b32_e32 v5, v6
	v_ashrrev_i32_e32 v4, 31, v4
	v_xor_b32_e32 v3, vcc_lo, v3
	v_and_b32_e32 v0, v0, v2
	v_cmp_gt_i32_e32 vcc_lo, 0, v6
	v_not_b32_e32 v2, v7
	v_ashrrev_i32_e32 v5, 31, v5
	v_xor_b32_e32 v4, s16, v4
	v_and_b32_e32 v0, v0, v3
	v_lshlrev_b32_e32 v3, 25, v1
	v_cmp_gt_i32_e64 s16, 0, v7
	v_ashrrev_i32_e32 v2, 31, v2
	v_xor_b32_e32 v5, vcc_lo, v5
	v_and_b32_e32 v0, v0, v4
	v_not_b32_e32 v6, v3
	v_lshlrev_b32_e32 v1, 24, v1
	v_bfe_u32 v4, v56, s24, 8
	v_xor_b32_e32 v2, s16, v2
	v_and_b32_e32 v0, v0, v5
	v_cmp_gt_i32_e32 vcc_lo, 0, v3
	v_ashrrev_i32_e32 v3, 31, v6
	v_not_b32_e32 v5, v1
	v_lshlrev_b32_e32 v4, 3, v4
	v_and_b32_e32 v0, v0, v2
	s_delay_alu instid0(VALU_DEP_4) | instskip(SKIP_3) | instid1(VALU_DEP_4)
	v_xor_b32_e32 v2, vcc_lo, v3
	v_cmp_gt_i32_e32 vcc_lo, 0, v1
	v_ashrrev_i32_e32 v1, 31, v5
	v_add_lshl_u32 v3, v4, v47, 2
	v_and_b32_e32 v0, v0, v2
	s_delay_alu instid0(VALU_DEP_3) | instskip(SKIP_3) | instid1(VALU_DEP_1)
	v_xor_b32_e32 v1, vcc_lo, v1
	ds_load_b32 v89, v3 offset:32
	v_add_nc_u32_e32 v91, 32, v3
	; wave barrier
	v_and_b32_e32 v0, v0, v1
	v_mbcnt_lo_u32_b32 v90, v0, 0
	v_cmp_ne_u32_e64 s16, 0, v0
	s_delay_alu instid0(VALU_DEP_2) | instskip(NEXT) | instid1(VALU_DEP_2)
	v_cmp_eq_u32_e32 vcc_lo, 0, v90
	s_and_b32 s25, s16, vcc_lo
	s_delay_alu instid0(SALU_CYCLE_1)
	s_and_saveexec_b32 s16, s25
	s_cbranch_execz .LBB35_30
; %bb.29:                               ;   in Loop: Header=BB35_6 Depth=2
	s_waitcnt lgkmcnt(0)
	v_bcnt_u32_b32 v0, v0, v89
	ds_store_b32 v91, v0
.LBB35_30:                              ;   in Loop: Header=BB35_6 Depth=2
	s_or_b32 exec_lo, exec_lo, s16
	v_bfe_u32 v0, v59, s24, 1
	v_lshrrev_b32_e32 v1, s24, v59
	; wave barrier
	s_delay_alu instid0(VALU_DEP_2) | instskip(NEXT) | instid1(VALU_DEP_1)
	v_add_co_u32 v0, s16, v0, -1
	v_cndmask_b32_e64 v2, 0, 1, s16
	s_delay_alu instid0(VALU_DEP_3)
	v_lshlrev_b32_e32 v3, 30, v1
	v_lshlrev_b32_e32 v4, 29, v1
	;; [unrolled: 1-line block ×4, first 2 shown]
	v_cmp_ne_u32_e32 vcc_lo, 0, v2
	v_not_b32_e32 v2, v3
	v_cmp_gt_i32_e64 s16, 0, v3
	v_not_b32_e32 v3, v4
	v_lshlrev_b32_e32 v7, 26, v1
	v_xor_b32_e32 v0, vcc_lo, v0
	v_ashrrev_i32_e32 v2, 31, v2
	v_cmp_gt_i32_e32 vcc_lo, 0, v4
	v_not_b32_e32 v4, v5
	v_ashrrev_i32_e32 v3, 31, v3
	v_and_b32_e32 v0, exec_lo, v0
	v_xor_b32_e32 v2, s16, v2
	v_cmp_gt_i32_e64 s16, 0, v5
	v_not_b32_e32 v5, v6
	v_ashrrev_i32_e32 v4, 31, v4
	v_xor_b32_e32 v3, vcc_lo, v3
	v_and_b32_e32 v0, v0, v2
	v_cmp_gt_i32_e32 vcc_lo, 0, v6
	v_not_b32_e32 v2, v7
	v_ashrrev_i32_e32 v5, 31, v5
	v_xor_b32_e32 v4, s16, v4
	v_and_b32_e32 v0, v0, v3
	v_lshlrev_b32_e32 v3, 25, v1
	v_cmp_gt_i32_e64 s16, 0, v7
	v_ashrrev_i32_e32 v2, 31, v2
	v_xor_b32_e32 v5, vcc_lo, v5
	v_and_b32_e32 v0, v0, v4
	v_not_b32_e32 v6, v3
	v_lshlrev_b32_e32 v1, 24, v1
	v_bfe_u32 v4, v59, s24, 8
	v_xor_b32_e32 v2, s16, v2
	v_and_b32_e32 v0, v0, v5
	v_cmp_gt_i32_e32 vcc_lo, 0, v3
	v_ashrrev_i32_e32 v3, 31, v6
	v_not_b32_e32 v5, v1
	v_lshlrev_b32_e32 v4, 3, v4
	v_and_b32_e32 v0, v0, v2
	s_delay_alu instid0(VALU_DEP_4) | instskip(SKIP_3) | instid1(VALU_DEP_4)
	v_xor_b32_e32 v2, vcc_lo, v3
	v_cmp_gt_i32_e32 vcc_lo, 0, v1
	v_ashrrev_i32_e32 v1, 31, v5
	v_add_lshl_u32 v3, v4, v47, 2
	v_and_b32_e32 v0, v0, v2
	s_delay_alu instid0(VALU_DEP_3) | instskip(SKIP_3) | instid1(VALU_DEP_1)
	v_xor_b32_e32 v1, vcc_lo, v1
	ds_load_b32 v92, v3 offset:32
	v_add_nc_u32_e32 v94, 32, v3
	; wave barrier
	v_and_b32_e32 v0, v0, v1
	v_mbcnt_lo_u32_b32 v93, v0, 0
	v_cmp_ne_u32_e64 s16, 0, v0
	s_delay_alu instid0(VALU_DEP_2) | instskip(NEXT) | instid1(VALU_DEP_2)
	v_cmp_eq_u32_e32 vcc_lo, 0, v93
	s_and_b32 s25, s16, vcc_lo
	s_delay_alu instid0(SALU_CYCLE_1)
	s_and_saveexec_b32 s16, s25
	s_cbranch_execz .LBB35_32
; %bb.31:                               ;   in Loop: Header=BB35_6 Depth=2
	s_waitcnt lgkmcnt(0)
	v_bcnt_u32_b32 v0, v0, v92
	ds_store_b32 v94, v0
.LBB35_32:                              ;   in Loop: Header=BB35_6 Depth=2
	s_or_b32 exec_lo, exec_lo, s16
	v_bfe_u32 v0, v58, s24, 1
	v_lshrrev_b32_e32 v1, s24, v58
	; wave barrier
	s_delay_alu instid0(VALU_DEP_2) | instskip(NEXT) | instid1(VALU_DEP_1)
	v_add_co_u32 v0, s16, v0, -1
	v_cndmask_b32_e64 v2, 0, 1, s16
	s_delay_alu instid0(VALU_DEP_3)
	v_lshlrev_b32_e32 v3, 30, v1
	v_lshlrev_b32_e32 v4, 29, v1
	;; [unrolled: 1-line block ×4, first 2 shown]
	v_cmp_ne_u32_e32 vcc_lo, 0, v2
	v_not_b32_e32 v2, v3
	v_cmp_gt_i32_e64 s16, 0, v3
	v_not_b32_e32 v3, v4
	v_lshlrev_b32_e32 v7, 26, v1
	v_xor_b32_e32 v0, vcc_lo, v0
	v_ashrrev_i32_e32 v2, 31, v2
	v_cmp_gt_i32_e32 vcc_lo, 0, v4
	v_not_b32_e32 v4, v5
	v_ashrrev_i32_e32 v3, 31, v3
	v_and_b32_e32 v0, exec_lo, v0
	v_xor_b32_e32 v2, s16, v2
	v_cmp_gt_i32_e64 s16, 0, v5
	v_not_b32_e32 v5, v6
	v_ashrrev_i32_e32 v4, 31, v4
	v_xor_b32_e32 v3, vcc_lo, v3
	v_and_b32_e32 v0, v0, v2
	v_cmp_gt_i32_e32 vcc_lo, 0, v6
	v_not_b32_e32 v2, v7
	v_ashrrev_i32_e32 v5, 31, v5
	v_xor_b32_e32 v4, s16, v4
	v_and_b32_e32 v0, v0, v3
	v_lshlrev_b32_e32 v3, 25, v1
	v_cmp_gt_i32_e64 s16, 0, v7
	v_ashrrev_i32_e32 v2, 31, v2
	v_xor_b32_e32 v5, vcc_lo, v5
	v_and_b32_e32 v0, v0, v4
	v_not_b32_e32 v6, v3
	v_lshlrev_b32_e32 v1, 24, v1
	v_bfe_u32 v4, v58, s24, 8
	v_xor_b32_e32 v2, s16, v2
	v_and_b32_e32 v0, v0, v5
	v_cmp_gt_i32_e32 vcc_lo, 0, v3
	v_ashrrev_i32_e32 v3, 31, v6
	v_not_b32_e32 v5, v1
	v_lshlrev_b32_e32 v4, 3, v4
	v_and_b32_e32 v0, v0, v2
	s_delay_alu instid0(VALU_DEP_4) | instskip(SKIP_3) | instid1(VALU_DEP_4)
	v_xor_b32_e32 v2, vcc_lo, v3
	v_cmp_gt_i32_e32 vcc_lo, 0, v1
	v_ashrrev_i32_e32 v1, 31, v5
	v_add_lshl_u32 v3, v4, v47, 2
	v_and_b32_e32 v0, v0, v2
	s_delay_alu instid0(VALU_DEP_3) | instskip(SKIP_3) | instid1(VALU_DEP_1)
	v_xor_b32_e32 v1, vcc_lo, v1
	ds_load_b32 v95, v3 offset:32
	v_add_nc_u32_e32 v97, 32, v3
	; wave barrier
	v_and_b32_e32 v0, v0, v1
	v_mbcnt_lo_u32_b32 v96, v0, 0
	v_cmp_ne_u32_e64 s16, 0, v0
	s_delay_alu instid0(VALU_DEP_2) | instskip(NEXT) | instid1(VALU_DEP_2)
	v_cmp_eq_u32_e32 vcc_lo, 0, v96
	s_and_b32 s25, s16, vcc_lo
	s_delay_alu instid0(SALU_CYCLE_1)
	s_and_saveexec_b32 s16, s25
	s_cbranch_execz .LBB35_34
; %bb.33:                               ;   in Loop: Header=BB35_6 Depth=2
	s_waitcnt lgkmcnt(0)
	v_bcnt_u32_b32 v0, v0, v95
	ds_store_b32 v97, v0
.LBB35_34:                              ;   in Loop: Header=BB35_6 Depth=2
	s_or_b32 exec_lo, exec_lo, s16
	v_bfe_u32 v1, v57, s24, 8
	; wave barrier
	v_lshrrev_b32_e32 v0, s24, v57
	s_delay_alu instid0(VALU_DEP_2) | instskip(NEXT) | instid1(VALU_DEP_1)
	v_lshlrev_b32_e32 v1, 3, v1
	v_add_lshl_u32 v1, v1, v47, 2
	s_delay_alu instid0(VALU_DEP_1) | instskip(SKIP_2) | instid1(VALU_DEP_1)
	v_add_nc_u32_e32 v99, 32, v1
	ds_load_b32 v98, v1 offset:32
	v_bfe_u32 v1, v57, s24, 1
	; wave barrier
	v_add_co_u32 v1, s16, v1, -1
	s_delay_alu instid0(VALU_DEP_1) | instskip(NEXT) | instid1(VALU_DEP_1)
	v_cndmask_b32_e64 v2, 0, 1, s16
	v_cmp_ne_u32_e32 vcc_lo, 0, v2
	v_lshlrev_b32_e32 v2, 30, v0
	s_delay_alu instid0(VALU_DEP_4) | instskip(NEXT) | instid1(VALU_DEP_2)
	v_xor_b32_e32 v1, vcc_lo, v1
	v_cmp_gt_i32_e32 vcc_lo, 0, v2
	v_not_b32_e32 v2, v2
	s_delay_alu instid0(VALU_DEP_3) | instskip(NEXT) | instid1(VALU_DEP_2)
	v_and_b32_e32 v1, exec_lo, v1
	v_ashrrev_i32_e32 v2, 31, v2
	s_delay_alu instid0(VALU_DEP_1) | instskip(NEXT) | instid1(VALU_DEP_1)
	v_xor_b32_e32 v2, vcc_lo, v2
	v_and_b32_e32 v1, v1, v2
	v_lshlrev_b32_e32 v2, 29, v0
	s_delay_alu instid0(VALU_DEP_1) | instskip(SKIP_1) | instid1(VALU_DEP_1)
	v_cmp_gt_i32_e32 vcc_lo, 0, v2
	v_not_b32_e32 v2, v2
	v_ashrrev_i32_e32 v2, 31, v2
	s_delay_alu instid0(VALU_DEP_1) | instskip(NEXT) | instid1(VALU_DEP_1)
	v_xor_b32_e32 v2, vcc_lo, v2
	v_and_b32_e32 v1, v1, v2
	v_lshlrev_b32_e32 v2, 28, v0
	s_delay_alu instid0(VALU_DEP_1) | instskip(SKIP_1) | instid1(VALU_DEP_1)
	v_cmp_gt_i32_e32 vcc_lo, 0, v2
	v_not_b32_e32 v2, v2
	;; [unrolled: 8-line block ×4, first 2 shown]
	v_ashrrev_i32_e32 v2, 31, v2
	s_delay_alu instid0(VALU_DEP_1) | instskip(NEXT) | instid1(VALU_DEP_1)
	v_xor_b32_e32 v2, vcc_lo, v2
	v_and_b32_e32 v1, v1, v2
	v_lshlrev_b32_e32 v2, 25, v0
	v_lshlrev_b32_e32 v0, 24, v0
	s_delay_alu instid0(VALU_DEP_2) | instskip(SKIP_1) | instid1(VALU_DEP_1)
	v_cmp_gt_i32_e32 vcc_lo, 0, v2
	v_not_b32_e32 v2, v2
	v_ashrrev_i32_e32 v2, 31, v2
	s_delay_alu instid0(VALU_DEP_1) | instskip(SKIP_2) | instid1(VALU_DEP_3)
	v_xor_b32_e32 v2, vcc_lo, v2
	v_cmp_gt_i32_e32 vcc_lo, 0, v0
	v_not_b32_e32 v0, v0
	v_and_b32_e32 v1, v1, v2
	s_delay_alu instid0(VALU_DEP_2) | instskip(NEXT) | instid1(VALU_DEP_1)
	v_ashrrev_i32_e32 v0, 31, v0
	v_xor_b32_e32 v0, vcc_lo, v0
	s_delay_alu instid0(VALU_DEP_1) | instskip(NEXT) | instid1(VALU_DEP_1)
	v_and_b32_e32 v0, v1, v0
	v_mbcnt_lo_u32_b32 v100, v0, 0
	v_cmp_ne_u32_e64 s16, 0, v0
	s_delay_alu instid0(VALU_DEP_2) | instskip(NEXT) | instid1(VALU_DEP_2)
	v_cmp_eq_u32_e32 vcc_lo, 0, v100
	s_and_b32 s25, s16, vcc_lo
	s_delay_alu instid0(SALU_CYCLE_1)
	s_and_saveexec_b32 s16, s25
	s_cbranch_execz .LBB35_36
; %bb.35:                               ;   in Loop: Header=BB35_6 Depth=2
	s_waitcnt lgkmcnt(0)
	v_bcnt_u32_b32 v0, v0, v98
	ds_store_b32 v99, v0
.LBB35_36:                              ;   in Loop: Header=BB35_6 Depth=2
	s_or_b32 exec_lo, exec_lo, s16
	v_bfe_u32 v0, v61, s24, 1
	v_lshrrev_b32_e32 v1, s24, v61
	; wave barrier
	s_delay_alu instid0(VALU_DEP_2) | instskip(NEXT) | instid1(VALU_DEP_1)
	v_add_co_u32 v0, s16, v0, -1
	v_cndmask_b32_e64 v2, 0, 1, s16
	s_delay_alu instid0(VALU_DEP_3)
	v_lshlrev_b32_e32 v3, 30, v1
	v_lshlrev_b32_e32 v4, 29, v1
	;; [unrolled: 1-line block ×4, first 2 shown]
	v_cmp_ne_u32_e32 vcc_lo, 0, v2
	v_not_b32_e32 v2, v3
	v_cmp_gt_i32_e64 s16, 0, v3
	v_not_b32_e32 v3, v4
	v_lshlrev_b32_e32 v7, 26, v1
	v_xor_b32_e32 v0, vcc_lo, v0
	v_ashrrev_i32_e32 v2, 31, v2
	v_cmp_gt_i32_e32 vcc_lo, 0, v4
	v_not_b32_e32 v4, v5
	v_ashrrev_i32_e32 v3, 31, v3
	v_and_b32_e32 v0, exec_lo, v0
	v_xor_b32_e32 v2, s16, v2
	v_cmp_gt_i32_e64 s16, 0, v5
	v_not_b32_e32 v5, v6
	v_ashrrev_i32_e32 v4, 31, v4
	v_xor_b32_e32 v3, vcc_lo, v3
	v_and_b32_e32 v0, v0, v2
	v_cmp_gt_i32_e32 vcc_lo, 0, v6
	v_not_b32_e32 v2, v7
	v_ashrrev_i32_e32 v5, 31, v5
	v_xor_b32_e32 v4, s16, v4
	v_and_b32_e32 v0, v0, v3
	v_lshlrev_b32_e32 v3, 25, v1
	v_cmp_gt_i32_e64 s16, 0, v7
	v_ashrrev_i32_e32 v2, 31, v2
	v_xor_b32_e32 v5, vcc_lo, v5
	v_and_b32_e32 v0, v0, v4
	v_not_b32_e32 v6, v3
	v_lshlrev_b32_e32 v1, 24, v1
	v_bfe_u32 v4, v61, s24, 8
	v_xor_b32_e32 v2, s16, v2
	v_and_b32_e32 v0, v0, v5
	v_cmp_gt_i32_e32 vcc_lo, 0, v3
	v_ashrrev_i32_e32 v3, 31, v6
	v_not_b32_e32 v5, v1
	v_lshlrev_b32_e32 v4, 3, v4
	v_and_b32_e32 v0, v0, v2
	s_delay_alu instid0(VALU_DEP_4) | instskip(SKIP_3) | instid1(VALU_DEP_4)
	v_xor_b32_e32 v2, vcc_lo, v3
	v_cmp_gt_i32_e32 vcc_lo, 0, v1
	v_ashrrev_i32_e32 v1, 31, v5
	v_add_lshl_u32 v3, v4, v47, 2
	v_and_b32_e32 v0, v0, v2
	s_delay_alu instid0(VALU_DEP_3) | instskip(SKIP_3) | instid1(VALU_DEP_1)
	v_xor_b32_e32 v1, vcc_lo, v1
	ds_load_b32 v101, v3 offset:32
	v_add_nc_u32_e32 v103, 32, v3
	; wave barrier
	v_and_b32_e32 v0, v0, v1
	v_mbcnt_lo_u32_b32 v102, v0, 0
	v_cmp_ne_u32_e64 s16, 0, v0
	s_delay_alu instid0(VALU_DEP_2) | instskip(NEXT) | instid1(VALU_DEP_2)
	v_cmp_eq_u32_e32 vcc_lo, 0, v102
	s_and_b32 s25, s16, vcc_lo
	s_delay_alu instid0(SALU_CYCLE_1)
	s_and_saveexec_b32 s16, s25
	s_cbranch_execz .LBB35_38
; %bb.37:                               ;   in Loop: Header=BB35_6 Depth=2
	s_waitcnt lgkmcnt(0)
	v_bcnt_u32_b32 v0, v0, v101
	ds_store_b32 v103, v0
.LBB35_38:                              ;   in Loop: Header=BB35_6 Depth=2
	s_or_b32 exec_lo, exec_lo, s16
	; wave barrier
	s_waitcnt lgkmcnt(0)
	s_barrier
	buffer_gl0_inv
	ds_load_2addr_b64 v[4:7], v21 offset0:4 offset1:5
	ds_load_2addr_b64 v[0:3], v22 offset0:2 offset1:3
	s_waitcnt lgkmcnt(1)
	v_add_nc_u32_e32 v104, v5, v4
	s_delay_alu instid0(VALU_DEP_1) | instskip(SKIP_1) | instid1(VALU_DEP_1)
	v_add3_u32 v104, v104, v6, v7
	s_waitcnt lgkmcnt(0)
	v_add3_u32 v104, v104, v0, v1
	s_delay_alu instid0(VALU_DEP_1) | instskip(NEXT) | instid1(VALU_DEP_1)
	v_add3_u32 v3, v104, v2, v3
	v_mov_b32_dpp v104, v3 row_shr:1 row_mask:0xf bank_mask:0xf
	s_delay_alu instid0(VALU_DEP_1) | instskip(NEXT) | instid1(VALU_DEP_1)
	v_cndmask_b32_e64 v104, v104, 0, s2
	v_add_nc_u32_e32 v3, v104, v3
	s_delay_alu instid0(VALU_DEP_1) | instskip(NEXT) | instid1(VALU_DEP_1)
	v_mov_b32_dpp v104, v3 row_shr:2 row_mask:0xf bank_mask:0xf
	v_cndmask_b32_e64 v104, 0, v104, s3
	s_delay_alu instid0(VALU_DEP_1) | instskip(NEXT) | instid1(VALU_DEP_1)
	v_add_nc_u32_e32 v3, v3, v104
	v_mov_b32_dpp v104, v3 row_shr:4 row_mask:0xf bank_mask:0xf
	s_delay_alu instid0(VALU_DEP_1) | instskip(NEXT) | instid1(VALU_DEP_1)
	v_cndmask_b32_e64 v104, 0, v104, s4
	v_add_nc_u32_e32 v3, v3, v104
	s_delay_alu instid0(VALU_DEP_1) | instskip(NEXT) | instid1(VALU_DEP_1)
	v_mov_b32_dpp v104, v3 row_shr:8 row_mask:0xf bank_mask:0xf
	v_cndmask_b32_e64 v104, 0, v104, s5
	s_delay_alu instid0(VALU_DEP_1) | instskip(SKIP_3) | instid1(VALU_DEP_1)
	v_add_nc_u32_e32 v3, v3, v104
	ds_swizzle_b32 v104, v3 offset:swizzle(BROADCAST,32,15)
	s_waitcnt lgkmcnt(0)
	v_cndmask_b32_e64 v104, v104, 0, s6
	v_add_nc_u32_e32 v3, v3, v104
	s_and_saveexec_b32 s16, s14
	s_cbranch_execz .LBB35_40
; %bb.39:                               ;   in Loop: Header=BB35_6 Depth=2
	ds_store_b32 v24, v3
.LBB35_40:                              ;   in Loop: Header=BB35_6 Depth=2
	s_or_b32 exec_lo, exec_lo, s16
	s_waitcnt lgkmcnt(0)
	s_barrier
	buffer_gl0_inv
	s_and_saveexec_b32 s16, s7
	s_cbranch_execz .LBB35_42
; %bb.41:                               ;   in Loop: Header=BB35_6 Depth=2
	ds_load_b32 v104, v25
	s_waitcnt lgkmcnt(0)
	v_mov_b32_dpp v105, v104 row_shr:1 row_mask:0xf bank_mask:0xf
	s_delay_alu instid0(VALU_DEP_1) | instskip(NEXT) | instid1(VALU_DEP_1)
	v_cndmask_b32_e64 v105, v105, 0, s11
	v_add_nc_u32_e32 v104, v105, v104
	s_delay_alu instid0(VALU_DEP_1) | instskip(NEXT) | instid1(VALU_DEP_1)
	v_mov_b32_dpp v105, v104 row_shr:2 row_mask:0xf bank_mask:0xf
	v_cndmask_b32_e64 v105, 0, v105, s12
	s_delay_alu instid0(VALU_DEP_1) | instskip(NEXT) | instid1(VALU_DEP_1)
	v_add_nc_u32_e32 v104, v104, v105
	v_mov_b32_dpp v105, v104 row_shr:4 row_mask:0xf bank_mask:0xf
	s_delay_alu instid0(VALU_DEP_1) | instskip(NEXT) | instid1(VALU_DEP_1)
	v_cndmask_b32_e64 v105, 0, v105, s13
	v_add_nc_u32_e32 v104, v104, v105
	ds_store_b32 v25, v104
.LBB35_42:                              ;   in Loop: Header=BB35_6 Depth=2
	s_or_b32 exec_lo, exec_lo, s16
	v_mov_b32_e32 v104, 0
	s_waitcnt lgkmcnt(0)
	s_barrier
	buffer_gl0_inv
	s_and_saveexec_b32 s16, s8
	s_cbranch_execz .LBB35_44
; %bb.43:                               ;   in Loop: Header=BB35_6 Depth=2
	ds_load_b32 v104, v45
.LBB35_44:                              ;   in Loop: Header=BB35_6 Depth=2
	s_or_b32 exec_lo, exec_lo, s16
	s_waitcnt lgkmcnt(0)
	v_add_nc_u32_e32 v3, v104, v3
	s_cmp_gt_u32 s24, 23
	ds_bpermute_b32 v3, v23, v3
	s_waitcnt lgkmcnt(0)
	v_cndmask_b32_e64 v3, v3, v104, s1
	s_delay_alu instid0(VALU_DEP_1) | instskip(NEXT) | instid1(VALU_DEP_1)
	v_cndmask_b32_e64 v3, v3, 0, s9
	v_add_nc_u32_e32 v4, v3, v4
	s_delay_alu instid0(VALU_DEP_1) | instskip(NEXT) | instid1(VALU_DEP_1)
	v_add_nc_u32_e32 v5, v4, v5
	v_add_nc_u32_e32 v6, v5, v6
	s_delay_alu instid0(VALU_DEP_1) | instskip(NEXT) | instid1(VALU_DEP_1)
	v_add_nc_u32_e32 v104, v6, v7
	v_add_nc_u32_e32 v105, v104, v0
	s_delay_alu instid0(VALU_DEP_1) | instskip(NEXT) | instid1(VALU_DEP_1)
	v_add_nc_u32_e32 v0, v105, v1
	v_add_nc_u32_e32 v1, v0, v2
	ds_store_2addr_b64 v21, v[3:4], v[5:6] offset0:4 offset1:5
	ds_store_2addr_b64 v22, v[104:105], v[0:1] offset0:2 offset1:3
	s_waitcnt lgkmcnt(0)
	s_barrier
	buffer_gl0_inv
	ds_load_b32 v0, v9
	ds_load_b32 v1, v12
	;; [unrolled: 1-line block ×16, first 2 shown]
	s_waitcnt lgkmcnt(15)
	v_add_nc_u32_e32 v91, v0, v8
	s_waitcnt lgkmcnt(14)
	v_add3_u32 v88, v11, v10, v1
	s_waitcnt lgkmcnt(13)
	v_add3_u32 v85, v14, v13, v2
	s_waitcnt lgkmcnt(12)
	v_add3_u32 v82, v66, v65, v3
	s_waitcnt lgkmcnt(11)
	v_add3_u32 v79, v69, v68, v4
	s_waitcnt lgkmcnt(10)
	v_add3_u32 v76, v72, v71, v5
	s_waitcnt lgkmcnt(9)
	v_add3_u32 v74, v75, v74, v6
	s_waitcnt lgkmcnt(8)
	v_add3_u32 v73, v78, v77, v7
	s_waitcnt lgkmcnt(7)
	v_add3_u32 v72, v81, v80, v9
	s_waitcnt lgkmcnt(6)
	v_add3_u32 v71, v84, v83, v12
	s_waitcnt lgkmcnt(5)
	v_add3_u32 v70, v87, v86, v15
	s_waitcnt lgkmcnt(4)
	v_add3_u32 v69, v90, v89, v67
	s_waitcnt lgkmcnt(3)
	v_add3_u32 v68, v93, v92, v94
	s_waitcnt lgkmcnt(2)
	v_add3_u32 v67, v96, v95, v97
	s_waitcnt lgkmcnt(1)
	v_add3_u32 v66, v100, v98, v99
	s_waitcnt lgkmcnt(0)
	v_add3_u32 v65, v102, v101, v103
	s_cbranch_scc0 .LBB35_5
; %bb.45:                               ;   in Loop: Header=BB35_2 Depth=1
                                        ; implicit-def: $sgpr24
                                        ; implicit-def: $vgpr14
                                        ; implicit-def: $vgpr12
                                        ; implicit-def: $vgpr10
                                        ; implicit-def: $vgpr0
                                        ; implicit-def: $vgpr2
                                        ; implicit-def: $vgpr4
                                        ; implicit-def: $vgpr6
                                        ; implicit-def: $vgpr8
.LBB35_46:                              ;   in Loop: Header=BB35_2 Depth=1
	v_lshlrev_b32_e32 v0, 2, v91
	v_lshlrev_b32_e32 v1, 2, v88
	s_barrier
	buffer_gl0_inv
	ds_store_b32 v0, v51
	v_lshlrev_b32_e32 v0, 2, v85
	v_lshlrev_b32_e32 v2, 2, v82
	;; [unrolled: 1-line block ×4, first 2 shown]
	ds_store_b32 v1, v50
	ds_store_b32 v0, v49
	;; [unrolled: 1-line block ×5, first 2 shown]
	v_lshlrev_b32_e32 v0, 2, v74
	v_lshlrev_b32_e32 v1, 2, v73
	;; [unrolled: 1-line block ×5, first 2 shown]
	ds_store_b32 v0, v55
	ds_store_b32 v1, v60
	;; [unrolled: 1-line block ×5, first 2 shown]
	v_lshlrev_b32_e32 v0, 2, v69
	v_lshlrev_b32_e32 v1, 2, v68
	;; [unrolled: 1-line block ×5, first 2 shown]
	ds_store_b32 v0, v56
	ds_store_b32 v1, v59
	;; [unrolled: 1-line block ×5, first 2 shown]
	s_waitcnt lgkmcnt(0)
	s_barrier
	buffer_gl0_inv
	ds_load_2addr_b64 v[12:15], v40 offset1:1
	ds_load_2addr_b64 v[8:11], v40 offset0:2 offset1:3
	ds_load_2addr_b64 v[4:7], v40 offset0:4 offset1:5
	;; [unrolled: 1-line block ×3, first 2 shown]
	s_waitcnt lgkmcnt(0)
	s_barrier
	buffer_gl0_inv
	s_and_saveexec_b32 s16, s0
	s_cbranch_execz .LBB35_48
; %bb.47:                               ;   in Loop: Header=BB35_2 Depth=1
	ds_store_2addr_stride64_b32 v42, v17, v17 offset0:8 offset1:12
.LBB35_48:                              ;   in Loop: Header=BB35_2 Depth=1
	s_or_b32 exec_lo, exec_lo, s16
	v_xor_b32_e32 v49, 0x80000000, v2
	v_xor_b32_e32 v50, 0x80000000, v3
	s_mov_b32 s16, exec_lo
	s_waitcnt lgkmcnt(0)
	s_barrier
	v_lshlrev_b32_e32 v49, 2, v49
	buffer_gl0_inv
	ds_store_b32 v25, v50
	v_cmpx_ne_u32_e64 v2, v3
	s_cbranch_execz .LBB35_50
; %bb.49:                               ;   in Loop: Header=BB35_2 Depth=1
	v_lshlrev_b32_e32 v50, 2, v50
	ds_store_b32 v50, v41 offset:2048
	ds_store_b32 v49, v41 offset:3072
.LBB35_50:                              ;   in Loop: Header=BB35_2 Depth=1
	s_or_b32 exec_lo, exec_lo, s16
	v_xor_b32_e32 v50, 0x80000000, v1
	s_mov_b32 s16, exec_lo
	s_delay_alu instid0(VALU_DEP_1)
	v_lshlrev_b32_e32 v50, 2, v50
	v_cmpx_ne_u32_e64 v1, v2
	s_cbranch_execz .LBB35_52
; %bb.51:                               ;   in Loop: Header=BB35_2 Depth=1
	ds_store_b32 v49, v39 offset:2048
	ds_store_b32 v50, v39 offset:3072
.LBB35_52:                              ;   in Loop: Header=BB35_2 Depth=1
	s_or_b32 exec_lo, exec_lo, s16
	v_xor_b32_e32 v49, 0x80000000, v0
	s_mov_b32 s16, exec_lo
	s_delay_alu instid0(VALU_DEP_1)
	v_lshlrev_b32_e32 v49, 2, v49
	v_cmpx_ne_u32_e64 v0, v1
	s_cbranch_execz .LBB35_54
; %bb.53:                               ;   in Loop: Header=BB35_2 Depth=1
	ds_store_b32 v50, v38 offset:2048
	ds_store_b32 v49, v38 offset:3072
.LBB35_54:                              ;   in Loop: Header=BB35_2 Depth=1
	;; [unrolled: 11-line block ×14, first 2 shown]
	s_or_b32 exec_lo, exec_lo, s16
	s_waitcnt lgkmcnt(0)
	s_barrier
	buffer_gl0_inv
	s_and_saveexec_b32 s16, s10
	s_cbranch_execz .LBB35_81
; %bb.79:                               ;   in Loop: Header=BB35_2 Depth=1
	ds_load_b32 v51, v46
	s_waitcnt lgkmcnt(0)
	v_cmp_ne_u32_e32 vcc_lo, v51, v50
	s_and_b32 exec_lo, exec_lo, vcc_lo
	s_cbranch_execz .LBB35_81
; %bb.80:                               ;   in Loop: Header=BB35_2 Depth=1
	ds_store_b32 v49, v19 offset:2048
	ds_load_b32 v50, v46
	s_waitcnt lgkmcnt(0)
	v_lshlrev_b32_e32 v50, 2, v50
	ds_store_b32 v50, v19 offset:3072
.LBB35_81:                              ;   in Loop: Header=BB35_2 Depth=1
	s_or_b32 exec_lo, exec_lo, s16
	s_waitcnt lgkmcnt(0)
	s_barrier
	buffer_gl0_inv
	s_and_saveexec_b32 s16, s9
	s_cbranch_execz .LBB35_83
; %bb.82:                               ;   in Loop: Header=BB35_2 Depth=1
	ds_store_b32 v49, v18 offset:2048
.LBB35_83:                              ;   in Loop: Header=BB35_2 Depth=1
	s_or_b32 exec_lo, exec_lo, s16
	s_waitcnt lgkmcnt(0)
	s_barrier
	buffer_gl0_inv
	s_and_saveexec_b32 s16, s0
	s_cbranch_execz .LBB35_1
; %bb.84:                               ;   in Loop: Header=BB35_2 Depth=1
	ds_load_2addr_stride64_b32 v[49:50], v42 offset0:8 offset1:12
	ds_load_b32 v51, v20
	s_waitcnt lgkmcnt(1)
	v_sub_nc_u32_e32 v49, v50, v49
	s_waitcnt lgkmcnt(0)
	s_delay_alu instid0(VALU_DEP_1)
	v_add_nc_u32_e32 v49, v49, v51
	ds_store_b32 v20, v49
	s_branch .LBB35_1
.LBB35_85:
	s_and_saveexec_b32 s1, s0
	s_cbranch_execz .LBB35_87
; %bb.86:
	ds_load_b32 v2, v20
	v_lshl_or_b32 v0, s15, 8, v16
	v_mov_b32_e32 v1, 0
	s_delay_alu instid0(VALU_DEP_1) | instskip(NEXT) | instid1(VALU_DEP_1)
	v_lshlrev_b64 v[0:1], 2, v[0:1]
	v_add_co_u32 v0, vcc_lo, s18, v0
	s_delay_alu instid0(VALU_DEP_2)
	v_add_co_ci_u32_e32 v1, vcc_lo, s19, v1, vcc_lo
	s_waitcnt lgkmcnt(0)
	global_store_b32 v[0:1], v2, off
.LBB35_87:
	s_nop 0
	s_sendmsg sendmsg(MSG_DEALLOC_VGPRS)
	s_endpgm
	.section	.rodata,"a",@progbits
	.p2align	6, 0x0
	.amdhsa_kernel _Z6kernelI9histogramILN6hipcub23BlockHistogramAlgorithmE1EEiLj256ELj16ELj256ELj100EEvPKT0_PS4_
		.amdhsa_group_segment_fixed_size 17408
		.amdhsa_private_segment_fixed_size 0
		.amdhsa_kernarg_size 272
		.amdhsa_user_sgpr_count 15
		.amdhsa_user_sgpr_dispatch_ptr 0
		.amdhsa_user_sgpr_queue_ptr 0
		.amdhsa_user_sgpr_kernarg_segment_ptr 1
		.amdhsa_user_sgpr_dispatch_id 0
		.amdhsa_user_sgpr_private_segment_size 0
		.amdhsa_wavefront_size32 1
		.amdhsa_uses_dynamic_stack 0
		.amdhsa_enable_private_segment 0
		.amdhsa_system_sgpr_workgroup_id_x 1
		.amdhsa_system_sgpr_workgroup_id_y 0
		.amdhsa_system_sgpr_workgroup_id_z 0
		.amdhsa_system_sgpr_workgroup_info 0
		.amdhsa_system_vgpr_workitem_id 2
		.amdhsa_next_free_vgpr 106
		.amdhsa_next_free_sgpr 26
		.amdhsa_reserve_vcc 1
		.amdhsa_float_round_mode_32 0
		.amdhsa_float_round_mode_16_64 0
		.amdhsa_float_denorm_mode_32 3
		.amdhsa_float_denorm_mode_16_64 3
		.amdhsa_dx10_clamp 1
		.amdhsa_ieee_mode 1
		.amdhsa_fp16_overflow 0
		.amdhsa_workgroup_processor_mode 1
		.amdhsa_memory_ordered 1
		.amdhsa_forward_progress 0
		.amdhsa_shared_vgpr_count 0
		.amdhsa_exception_fp_ieee_invalid_op 0
		.amdhsa_exception_fp_denorm_src 0
		.amdhsa_exception_fp_ieee_div_zero 0
		.amdhsa_exception_fp_ieee_overflow 0
		.amdhsa_exception_fp_ieee_underflow 0
		.amdhsa_exception_fp_ieee_inexact 0
		.amdhsa_exception_int_div_zero 0
	.end_amdhsa_kernel
	.section	.text._Z6kernelI9histogramILN6hipcub23BlockHistogramAlgorithmE1EEiLj256ELj16ELj256ELj100EEvPKT0_PS4_,"axG",@progbits,_Z6kernelI9histogramILN6hipcub23BlockHistogramAlgorithmE1EEiLj256ELj16ELj256ELj100EEvPKT0_PS4_,comdat
.Lfunc_end35:
	.size	_Z6kernelI9histogramILN6hipcub23BlockHistogramAlgorithmE1EEiLj256ELj16ELj256ELj100EEvPKT0_PS4_, .Lfunc_end35-_Z6kernelI9histogramILN6hipcub23BlockHistogramAlgorithmE1EEiLj256ELj16ELj256ELj100EEvPKT0_PS4_
                                        ; -- End function
	.section	.AMDGPU.csdata,"",@progbits
; Kernel info:
; codeLenInByte = 8812
; NumSgprs: 28
; NumVgprs: 106
; ScratchSize: 0
; MemoryBound: 0
; FloatMode: 240
; IeeeMode: 1
; LDSByteSize: 17408 bytes/workgroup (compile time only)
; SGPRBlocks: 3
; VGPRBlocks: 13
; NumSGPRsForWavesPerEU: 28
; NumVGPRsForWavesPerEU: 106
; Occupancy: 12
; WaveLimiterHint : 0
; COMPUTE_PGM_RSRC2:SCRATCH_EN: 0
; COMPUTE_PGM_RSRC2:USER_SGPR: 15
; COMPUTE_PGM_RSRC2:TRAP_HANDLER: 0
; COMPUTE_PGM_RSRC2:TGID_X_EN: 1
; COMPUTE_PGM_RSRC2:TGID_Y_EN: 0
; COMPUTE_PGM_RSRC2:TGID_Z_EN: 0
; COMPUTE_PGM_RSRC2:TIDIG_COMP_CNT: 2
	.section	.text._Z6kernelI9histogramILN6hipcub23BlockHistogramAlgorithmE1EEiLj320ELj1ELj320ELj100EEvPKT0_PS4_,"axG",@progbits,_Z6kernelI9histogramILN6hipcub23BlockHistogramAlgorithmE1EEiLj320ELj1ELj320ELj100EEvPKT0_PS4_,comdat
	.protected	_Z6kernelI9histogramILN6hipcub23BlockHistogramAlgorithmE1EEiLj320ELj1ELj320ELj100EEvPKT0_PS4_ ; -- Begin function _Z6kernelI9histogramILN6hipcub23BlockHistogramAlgorithmE1EEiLj320ELj1ELj320ELj100EEvPKT0_PS4_
	.globl	_Z6kernelI9histogramILN6hipcub23BlockHistogramAlgorithmE1EEiLj320ELj1ELj320ELj100EEvPKT0_PS4_
	.p2align	8
	.type	_Z6kernelI9histogramILN6hipcub23BlockHistogramAlgorithmE1EEiLj320ELj1ELj320ELj100EEvPKT0_PS4_,@function
_Z6kernelI9histogramILN6hipcub23BlockHistogramAlgorithmE1EEiLj320ELj1ELj320ELj100EEvPKT0_PS4_: ; @_Z6kernelI9histogramILN6hipcub23BlockHistogramAlgorithmE1EEiLj320ELj1ELj320ELj100EEvPKT0_PS4_
; %bb.0:
	s_clause 0x1
	s_load_b128 s[16:19], s[0:1], 0x0
	s_load_b32 s10, s[0:1], 0x1c
	s_mov_b32 s14, 0
	v_and_b32_e32 v10, 0x3ff, v0
	v_bfe_u32 v3, v0, 10, 10
	v_bfe_u32 v0, v0, 20, 10
	s_movk_i32 s20, 0x64
	v_mov_b32_e32 v26, 0x140
	v_mad_u64_u32 v[11:12], null, 0x140, s15, v[10:11]
	v_mov_b32_e32 v12, 0
	s_mov_b32 s15, s14
	v_mov_b32_e32 v13, s14
	v_cmp_gt_u32_e64 s6, 10, v10
	v_cmp_lt_u32_e64 s7, 31, v10
	v_cmp_ne_u32_e64 s9, 0, v10
	v_lshlrev_b64 v[8:9], 2, v[11:12]
	v_lshlrev_b32_e32 v11, 5, v10
	v_lshl_add_u32 v17, v10, 2, 0x2830
	s_waitcnt lgkmcnt(0)
	s_lshr_b32 s11, s10, 16
	s_delay_alu instid0(VALU_DEP_3)
	v_add_co_u32 v1, vcc_lo, s16, v8
	v_add_co_ci_u32_e32 v2, vcc_lo, s17, v9, vcc_lo
	s_mov_b32 s16, s14
	s_mov_b32 s17, s14
	v_mov_b32_e32 v15, s16
	global_load_b32 v2, v[1:2], off
	v_mbcnt_lo_u32_b32 v1, -1, 0
	v_mov_b32_e32 v14, s15
	v_mov_b32_e32 v16, s17
	v_mad_u32_u24 v3, v0, s11, v3
	s_and_b32 s10, s10, 0xffff
	v_and_b32_e32 v4, 15, v1
	v_add_nc_u32_e32 v6, -1, v1
	v_and_b32_e32 v5, 16, v1
	v_cmp_eq_u32_e64 s0, 0, v1
	v_mad_i32_i24 v20, 0xffffffe4, v10, v11
	v_cmp_eq_u32_e64 s1, 0, v4
	v_cmp_lt_u32_e64 s2, 1, v4
	v_cmp_lt_u32_e64 s3, 3, v4
	;; [unrolled: 1-line block ×3, first 2 shown]
	v_and_b32_e32 v4, 0x1e0, v10
	v_cmp_gt_i32_e64 s8, 0, v6
	v_cmp_eq_u32_e64 s5, 0, v5
	v_cmp_gt_u32_e32 vcc_lo, 0x140, v10
	v_add_nc_u32_e32 v18, 40, v11
	v_min_u32_e32 v7, 0x120, v4
	v_cndmask_b32_e64 v5, v6, v1, s8
	v_lshrrev_b32_e32 v6, 3, v10
	v_or_b32_e32 v4, v1, v4
	v_mad_u64_u32 v[0:1], null, v3, s10, v[10:11]
	v_or_b32_e32 v1, 31, v7
	s_delay_alu instid0(VALU_DEP_4)
	v_and_b32_e32 v19, 60, v6
	v_cmp_eq_u32_e64 s8, 0, v10
	v_lshlrev_b32_e32 v21, 2, v5
	v_lshlrev_b32_e32 v23, 2, v4
	v_add_nc_u32_e32 v24, -4, v20
	v_add_nc_u32_e32 v22, -4, v19
	v_cmp_eq_u32_e64 s10, v1, v10
	v_lshrrev_b32_e32 v25, 5, v0
	s_waitcnt vmcnt(0)
	v_xor_b32_e32 v27, 0x80000000, v2
	s_branch .LBB36_2
.LBB36_1:                               ;   in Loop: Header=BB36_2 Depth=1
	s_or_b32 exec_lo, exec_lo, s11
	s_add_i32 s20, s20, -1
	s_delay_alu instid0(SALU_CYCLE_1)
	s_cmp_lg_u32 s20, 0
	s_cbranch_scc0 .LBB36_45
.LBB36_2:                               ; =>This Inner Loop Header: Depth=1
	s_and_saveexec_b32 s11, vcc_lo
	s_cbranch_execz .LBB36_4
; %bb.3:                                ;   in Loop: Header=BB36_2 Depth=1
	ds_store_b32 v17, v12
.LBB36_4:                               ;   in Loop: Header=BB36_2 Depth=1
	s_or_b32 exec_lo, exec_lo, s11
	v_and_b32_e32 v0, 1, v27
	v_lshlrev_b32_e32 v1, 30, v27
	v_lshlrev_b32_e32 v2, 29, v27
	;; [unrolled: 1-line block ×4, first 2 shown]
	v_add_co_u32 v0, s11, v0, -1
	s_delay_alu instid0(VALU_DEP_1)
	v_cndmask_b32_e64 v3, 0, 1, s11
	v_not_b32_e32 v7, v1
	v_cmp_gt_i32_e64 s12, 0, v1
	v_not_b32_e32 v1, v2
	v_lshlrev_b32_e32 v6, 26, v27
	v_cmp_ne_u32_e64 s11, 0, v3
	v_ashrrev_i32_e32 v7, 31, v7
	v_lshlrev_b32_e32 v3, 25, v27
	v_ashrrev_i32_e32 v1, 31, v1
	v_cmp_gt_i32_e64 s13, 0, v5
	v_xor_b32_e32 v0, s11, v0
	v_cmp_gt_i32_e64 s11, 0, v2
	v_not_b32_e32 v2, v4
	v_xor_b32_e32 v7, s12, v7
	v_cmp_gt_i32_e64 s12, 0, v4
	v_and_b32_e32 v0, exec_lo, v0
	v_xor_b32_e32 v1, s11, v1
	v_ashrrev_i32_e32 v2, 31, v2
	v_not_b32_e32 v4, v5
	v_not_b32_e32 v5, v6
	v_and_b32_e32 v0, v0, v7
	v_cmp_gt_i32_e64 s11, 0, v6
	v_xor_b32_e32 v2, s12, v2
	v_not_b32_e32 v6, v3
	s_waitcnt lgkmcnt(0)
	v_and_b32_e32 v0, v0, v1
	v_ashrrev_i32_e32 v1, 31, v4
	v_ashrrev_i32_e32 v4, 31, v5
	v_lshlrev_b32_e32 v5, 24, v27
	s_barrier
	v_and_b32_e32 v0, v0, v2
	v_xor_b32_e32 v1, s13, v1
	v_xor_b32_e32 v2, s11, v4
	v_cmp_gt_i32_e64 s11, 0, v3
	v_not_b32_e32 v3, v5
	v_ashrrev_i32_e32 v4, 31, v6
	v_and_b32_e32 v0, v0, v1
	v_cmp_gt_i32_e64 s12, 0, v5
	buffer_gl0_inv
	v_ashrrev_i32_e32 v1, 31, v3
	v_xor_b32_e32 v3, s11, v4
	v_and_b32_e32 v0, v0, v2
	ds_store_2addr_b64 v11, v[13:14], v[15:16] offset0:5 offset1:6
	ds_store_2addr_b64 v18, v[13:14], v[15:16] offset0:2 offset1:3
	s_waitcnt lgkmcnt(0)
	v_xor_b32_e32 v1, s12, v1
	s_barrier
	v_and_b32_e32 v0, v0, v3
	buffer_gl0_inv
	; wave barrier
	v_and_b32_e32 v0, v0, v1
	v_and_b32_e32 v1, 0xff, v27
	s_delay_alu instid0(VALU_DEP_2) | instskip(NEXT) | instid1(VALU_DEP_2)
	v_mbcnt_lo_u32_b32 v28, v0, 0
	v_mad_u32_u24 v1, v1, 10, v25
	v_cmp_ne_u32_e64 s12, 0, v0
	s_delay_alu instid0(VALU_DEP_3) | instskip(NEXT) | instid1(VALU_DEP_3)
	v_cmp_eq_u32_e64 s11, 0, v28
	v_lshl_add_u32 v29, v1, 2, 40
	s_delay_alu instid0(VALU_DEP_2) | instskip(NEXT) | instid1(SALU_CYCLE_1)
	s_and_b32 s12, s12, s11
	s_and_saveexec_b32 s11, s12
	s_cbranch_execz .LBB36_6
; %bb.5:                                ;   in Loop: Header=BB36_2 Depth=1
	v_bcnt_u32_b32 v0, v0, 0
	ds_store_b32 v29, v0
.LBB36_6:                               ;   in Loop: Header=BB36_2 Depth=1
	s_or_b32 exec_lo, exec_lo, s11
	; wave barrier
	s_waitcnt lgkmcnt(0)
	s_barrier
	buffer_gl0_inv
	ds_load_2addr_b64 v[4:7], v11 offset0:5 offset1:6
	ds_load_2addr_b64 v[0:3], v18 offset0:2 offset1:3
	s_waitcnt lgkmcnt(1)
	v_add_nc_u32_e32 v30, v5, v4
	s_delay_alu instid0(VALU_DEP_1) | instskip(SKIP_1) | instid1(VALU_DEP_1)
	v_add3_u32 v30, v30, v6, v7
	s_waitcnt lgkmcnt(0)
	v_add3_u32 v30, v30, v0, v1
	s_delay_alu instid0(VALU_DEP_1) | instskip(NEXT) | instid1(VALU_DEP_1)
	v_add3_u32 v3, v30, v2, v3
	v_mov_b32_dpp v30, v3 row_shr:1 row_mask:0xf bank_mask:0xf
	s_delay_alu instid0(VALU_DEP_1) | instskip(NEXT) | instid1(VALU_DEP_1)
	v_cndmask_b32_e64 v30, v30, 0, s1
	v_add_nc_u32_e32 v3, v30, v3
	s_delay_alu instid0(VALU_DEP_1) | instskip(NEXT) | instid1(VALU_DEP_1)
	v_mov_b32_dpp v30, v3 row_shr:2 row_mask:0xf bank_mask:0xf
	v_cndmask_b32_e64 v30, 0, v30, s2
	s_delay_alu instid0(VALU_DEP_1) | instskip(NEXT) | instid1(VALU_DEP_1)
	v_add_nc_u32_e32 v3, v3, v30
	v_mov_b32_dpp v30, v3 row_shr:4 row_mask:0xf bank_mask:0xf
	s_delay_alu instid0(VALU_DEP_1) | instskip(NEXT) | instid1(VALU_DEP_1)
	v_cndmask_b32_e64 v30, 0, v30, s3
	v_add_nc_u32_e32 v3, v3, v30
	s_delay_alu instid0(VALU_DEP_1) | instskip(NEXT) | instid1(VALU_DEP_1)
	v_mov_b32_dpp v30, v3 row_shr:8 row_mask:0xf bank_mask:0xf
	v_cndmask_b32_e64 v30, 0, v30, s4
	s_delay_alu instid0(VALU_DEP_1) | instskip(SKIP_3) | instid1(VALU_DEP_1)
	v_add_nc_u32_e32 v3, v3, v30
	ds_swizzle_b32 v30, v3 offset:swizzle(BROADCAST,32,15)
	s_waitcnt lgkmcnt(0)
	v_cndmask_b32_e64 v30, v30, 0, s5
	v_add_nc_u32_e32 v3, v3, v30
	s_and_saveexec_b32 s11, s10
	s_cbranch_execz .LBB36_8
; %bb.7:                                ;   in Loop: Header=BB36_2 Depth=1
	ds_store_b32 v19, v3
.LBB36_8:                               ;   in Loop: Header=BB36_2 Depth=1
	s_or_b32 exec_lo, exec_lo, s11
	s_waitcnt lgkmcnt(0)
	s_barrier
	buffer_gl0_inv
	s_and_saveexec_b32 s11, s6
	s_cbranch_execz .LBB36_10
; %bb.9:                                ;   in Loop: Header=BB36_2 Depth=1
	ds_load_b32 v30, v20
	s_waitcnt lgkmcnt(0)
	v_mov_b32_dpp v31, v30 row_shr:1 row_mask:0xf bank_mask:0xf
	s_delay_alu instid0(VALU_DEP_1) | instskip(NEXT) | instid1(VALU_DEP_1)
	v_cndmask_b32_e64 v31, v31, 0, s1
	v_add_nc_u32_e32 v30, v31, v30
	s_delay_alu instid0(VALU_DEP_1) | instskip(NEXT) | instid1(VALU_DEP_1)
	v_mov_b32_dpp v31, v30 row_shr:2 row_mask:0xf bank_mask:0xf
	v_cndmask_b32_e64 v31, 0, v31, s2
	s_delay_alu instid0(VALU_DEP_1) | instskip(NEXT) | instid1(VALU_DEP_1)
	v_add_nc_u32_e32 v30, v30, v31
	v_mov_b32_dpp v31, v30 row_shr:4 row_mask:0xf bank_mask:0xf
	s_delay_alu instid0(VALU_DEP_1) | instskip(NEXT) | instid1(VALU_DEP_1)
	v_cndmask_b32_e64 v31, 0, v31, s3
	v_add_nc_u32_e32 v30, v30, v31
	s_delay_alu instid0(VALU_DEP_1) | instskip(NEXT) | instid1(VALU_DEP_1)
	v_mov_b32_dpp v31, v30 row_shr:8 row_mask:0xf bank_mask:0xf
	v_cndmask_b32_e64 v31, 0, v31, s4
	s_delay_alu instid0(VALU_DEP_1)
	v_add_nc_u32_e32 v30, v30, v31
	ds_store_b32 v20, v30
.LBB36_10:                              ;   in Loop: Header=BB36_2 Depth=1
	s_or_b32 exec_lo, exec_lo, s11
	v_mov_b32_e32 v30, 0
	s_waitcnt lgkmcnt(0)
	s_barrier
	buffer_gl0_inv
	s_and_saveexec_b32 s11, s7
	s_cbranch_execz .LBB36_12
; %bb.11:                               ;   in Loop: Header=BB36_2 Depth=1
	ds_load_b32 v30, v22
.LBB36_12:                              ;   in Loop: Header=BB36_2 Depth=1
	s_or_b32 exec_lo, exec_lo, s11
	s_waitcnt lgkmcnt(0)
	v_add_nc_u32_e32 v3, v30, v3
	ds_bpermute_b32 v3, v21, v3
	s_waitcnt lgkmcnt(0)
	v_cndmask_b32_e64 v3, v3, v30, s0
	s_delay_alu instid0(VALU_DEP_1) | instskip(NEXT) | instid1(VALU_DEP_1)
	v_cndmask_b32_e64 v3, v3, 0, s8
	v_add_nc_u32_e32 v4, v3, v4
	s_delay_alu instid0(VALU_DEP_1) | instskip(NEXT) | instid1(VALU_DEP_1)
	v_add_nc_u32_e32 v5, v4, v5
	v_add_nc_u32_e32 v6, v5, v6
	s_delay_alu instid0(VALU_DEP_1) | instskip(NEXT) | instid1(VALU_DEP_1)
	v_add_nc_u32_e32 v30, v6, v7
	v_add_nc_u32_e32 v31, v30, v0
	s_delay_alu instid0(VALU_DEP_1) | instskip(NEXT) | instid1(VALU_DEP_1)
	v_add_nc_u32_e32 v0, v31, v1
	v_add_nc_u32_e32 v1, v0, v2
	ds_store_2addr_b64 v11, v[3:4], v[5:6] offset0:5 offset1:6
	ds_store_2addr_b64 v18, v[30:31], v[0:1] offset0:2 offset1:3
	s_waitcnt lgkmcnt(0)
	s_barrier
	buffer_gl0_inv
	ds_load_b32 v0, v29
	v_lshlrev_b32_e32 v1, 2, v28
	s_waitcnt lgkmcnt(0)
	s_barrier
	buffer_gl0_inv
	v_lshl_add_u32 v0, v0, 2, v1
	ds_store_b32 v0, v27
	s_waitcnt lgkmcnt(0)
	s_barrier
	buffer_gl0_inv
	ds_load_b32 v27, v23
	s_waitcnt lgkmcnt(0)
	s_barrier
	buffer_gl0_inv
	ds_store_2addr_b64 v11, v[13:14], v[15:16] offset0:5 offset1:6
	ds_store_2addr_b64 v18, v[13:14], v[15:16] offset0:2 offset1:3
	s_waitcnt lgkmcnt(0)
	s_barrier
	buffer_gl0_inv
	; wave barrier
	v_bfe_u32 v0, v27, 8, 1
	v_lshrrev_b32_e32 v1, 8, v27
	s_delay_alu instid0(VALU_DEP_2) | instskip(NEXT) | instid1(VALU_DEP_1)
	v_add_co_u32 v0, s11, v0, -1
	v_cndmask_b32_e64 v2, 0, 1, s11
	s_delay_alu instid0(VALU_DEP_3)
	v_lshlrev_b32_e32 v3, 30, v1
	v_lshlrev_b32_e32 v4, 29, v1
	;; [unrolled: 1-line block ×4, first 2 shown]
	v_cmp_ne_u32_e64 s11, 0, v2
	v_not_b32_e32 v2, v3
	v_cmp_gt_i32_e64 s12, 0, v3
	v_not_b32_e32 v3, v4
	v_lshlrev_b32_e32 v7, 26, v1
	v_xor_b32_e32 v0, s11, v0
	v_ashrrev_i32_e32 v2, 31, v2
	v_cmp_gt_i32_e64 s11, 0, v4
	v_not_b32_e32 v4, v5
	v_ashrrev_i32_e32 v3, 31, v3
	v_and_b32_e32 v0, exec_lo, v0
	v_xor_b32_e32 v2, s12, v2
	v_cmp_gt_i32_e64 s12, 0, v5
	v_not_b32_e32 v5, v6
	v_ashrrev_i32_e32 v4, 31, v4
	v_xor_b32_e32 v3, s11, v3
	v_and_b32_e32 v0, v0, v2
	v_lshlrev_b32_e32 v28, 25, v1
	v_cmp_gt_i32_e64 s11, 0, v6
	v_not_b32_e32 v2, v7
	v_ashrrev_i32_e32 v5, 31, v5
	v_xor_b32_e32 v4, s12, v4
	v_and_b32_e32 v0, v0, v3
	v_lshlrev_b32_e32 v1, 24, v1
	v_cmp_gt_i32_e64 s12, 0, v7
	v_not_b32_e32 v3, v28
	v_ashrrev_i32_e32 v2, 31, v2
	v_xor_b32_e32 v5, s11, v5
	v_and_b32_e32 v0, v0, v4
	v_cmp_gt_i32_e64 s11, 0, v28
	v_not_b32_e32 v4, v1
	v_ashrrev_i32_e32 v3, 31, v3
	v_xor_b32_e32 v2, s12, v2
	v_and_b32_e32 v0, v0, v5
	v_cmp_gt_i32_e64 s12, 0, v1
	v_ashrrev_i32_e32 v1, 31, v4
	v_xor_b32_e32 v3, s11, v3
	s_delay_alu instid0(VALU_DEP_4) | instskip(NEXT) | instid1(VALU_DEP_3)
	v_and_b32_e32 v0, v0, v2
	v_xor_b32_e32 v1, s12, v1
	s_delay_alu instid0(VALU_DEP_2) | instskip(NEXT) | instid1(VALU_DEP_1)
	v_and_b32_e32 v0, v0, v3
	v_and_b32_e32 v0, v0, v1
	v_bfe_u32 v1, v27, 8, 8
	s_delay_alu instid0(VALU_DEP_2) | instskip(NEXT) | instid1(VALU_DEP_2)
	v_mbcnt_lo_u32_b32 v28, v0, 0
	v_mad_u32_u24 v1, v1, 10, v25
	v_cmp_ne_u32_e64 s12, 0, v0
	s_delay_alu instid0(VALU_DEP_3) | instskip(NEXT) | instid1(VALU_DEP_3)
	v_cmp_eq_u32_e64 s11, 0, v28
	v_lshl_add_u32 v29, v1, 2, 40
	s_delay_alu instid0(VALU_DEP_2) | instskip(NEXT) | instid1(SALU_CYCLE_1)
	s_and_b32 s12, s12, s11
	s_and_saveexec_b32 s11, s12
	s_cbranch_execz .LBB36_14
; %bb.13:                               ;   in Loop: Header=BB36_2 Depth=1
	v_bcnt_u32_b32 v0, v0, 0
	ds_store_b32 v29, v0
.LBB36_14:                              ;   in Loop: Header=BB36_2 Depth=1
	s_or_b32 exec_lo, exec_lo, s11
	; wave barrier
	s_waitcnt lgkmcnt(0)
	s_barrier
	buffer_gl0_inv
	ds_load_2addr_b64 v[4:7], v11 offset0:5 offset1:6
	ds_load_2addr_b64 v[0:3], v18 offset0:2 offset1:3
	s_waitcnt lgkmcnt(1)
	v_add_nc_u32_e32 v30, v5, v4
	s_delay_alu instid0(VALU_DEP_1) | instskip(SKIP_1) | instid1(VALU_DEP_1)
	v_add3_u32 v30, v30, v6, v7
	s_waitcnt lgkmcnt(0)
	v_add3_u32 v30, v30, v0, v1
	s_delay_alu instid0(VALU_DEP_1) | instskip(NEXT) | instid1(VALU_DEP_1)
	v_add3_u32 v3, v30, v2, v3
	v_mov_b32_dpp v30, v3 row_shr:1 row_mask:0xf bank_mask:0xf
	s_delay_alu instid0(VALU_DEP_1) | instskip(NEXT) | instid1(VALU_DEP_1)
	v_cndmask_b32_e64 v30, v30, 0, s1
	v_add_nc_u32_e32 v3, v30, v3
	s_delay_alu instid0(VALU_DEP_1) | instskip(NEXT) | instid1(VALU_DEP_1)
	v_mov_b32_dpp v30, v3 row_shr:2 row_mask:0xf bank_mask:0xf
	v_cndmask_b32_e64 v30, 0, v30, s2
	s_delay_alu instid0(VALU_DEP_1) | instskip(NEXT) | instid1(VALU_DEP_1)
	v_add_nc_u32_e32 v3, v3, v30
	v_mov_b32_dpp v30, v3 row_shr:4 row_mask:0xf bank_mask:0xf
	s_delay_alu instid0(VALU_DEP_1) | instskip(NEXT) | instid1(VALU_DEP_1)
	v_cndmask_b32_e64 v30, 0, v30, s3
	v_add_nc_u32_e32 v3, v3, v30
	s_delay_alu instid0(VALU_DEP_1) | instskip(NEXT) | instid1(VALU_DEP_1)
	v_mov_b32_dpp v30, v3 row_shr:8 row_mask:0xf bank_mask:0xf
	v_cndmask_b32_e64 v30, 0, v30, s4
	s_delay_alu instid0(VALU_DEP_1) | instskip(SKIP_3) | instid1(VALU_DEP_1)
	v_add_nc_u32_e32 v3, v3, v30
	ds_swizzle_b32 v30, v3 offset:swizzle(BROADCAST,32,15)
	s_waitcnt lgkmcnt(0)
	v_cndmask_b32_e64 v30, v30, 0, s5
	v_add_nc_u32_e32 v3, v3, v30
	s_and_saveexec_b32 s11, s10
	s_cbranch_execz .LBB36_16
; %bb.15:                               ;   in Loop: Header=BB36_2 Depth=1
	ds_store_b32 v19, v3
.LBB36_16:                              ;   in Loop: Header=BB36_2 Depth=1
	s_or_b32 exec_lo, exec_lo, s11
	s_waitcnt lgkmcnt(0)
	s_barrier
	buffer_gl0_inv
	s_and_saveexec_b32 s11, s6
	s_cbranch_execz .LBB36_18
; %bb.17:                               ;   in Loop: Header=BB36_2 Depth=1
	ds_load_b32 v30, v20
	s_waitcnt lgkmcnt(0)
	v_mov_b32_dpp v31, v30 row_shr:1 row_mask:0xf bank_mask:0xf
	s_delay_alu instid0(VALU_DEP_1) | instskip(NEXT) | instid1(VALU_DEP_1)
	v_cndmask_b32_e64 v31, v31, 0, s1
	v_add_nc_u32_e32 v30, v31, v30
	s_delay_alu instid0(VALU_DEP_1) | instskip(NEXT) | instid1(VALU_DEP_1)
	v_mov_b32_dpp v31, v30 row_shr:2 row_mask:0xf bank_mask:0xf
	v_cndmask_b32_e64 v31, 0, v31, s2
	s_delay_alu instid0(VALU_DEP_1) | instskip(NEXT) | instid1(VALU_DEP_1)
	v_add_nc_u32_e32 v30, v30, v31
	v_mov_b32_dpp v31, v30 row_shr:4 row_mask:0xf bank_mask:0xf
	s_delay_alu instid0(VALU_DEP_1) | instskip(NEXT) | instid1(VALU_DEP_1)
	v_cndmask_b32_e64 v31, 0, v31, s3
	v_add_nc_u32_e32 v30, v30, v31
	s_delay_alu instid0(VALU_DEP_1) | instskip(NEXT) | instid1(VALU_DEP_1)
	v_mov_b32_dpp v31, v30 row_shr:8 row_mask:0xf bank_mask:0xf
	v_cndmask_b32_e64 v31, 0, v31, s4
	s_delay_alu instid0(VALU_DEP_1)
	v_add_nc_u32_e32 v30, v30, v31
	ds_store_b32 v20, v30
.LBB36_18:                              ;   in Loop: Header=BB36_2 Depth=1
	s_or_b32 exec_lo, exec_lo, s11
	v_mov_b32_e32 v30, 0
	s_waitcnt lgkmcnt(0)
	s_barrier
	buffer_gl0_inv
	s_and_saveexec_b32 s11, s7
	s_cbranch_execz .LBB36_20
; %bb.19:                               ;   in Loop: Header=BB36_2 Depth=1
	ds_load_b32 v30, v22
.LBB36_20:                              ;   in Loop: Header=BB36_2 Depth=1
	s_or_b32 exec_lo, exec_lo, s11
	s_waitcnt lgkmcnt(0)
	v_add_nc_u32_e32 v3, v30, v3
	ds_bpermute_b32 v3, v21, v3
	s_waitcnt lgkmcnt(0)
	v_cndmask_b32_e64 v3, v3, v30, s0
	s_delay_alu instid0(VALU_DEP_1) | instskip(NEXT) | instid1(VALU_DEP_1)
	v_cndmask_b32_e64 v3, v3, 0, s8
	v_add_nc_u32_e32 v4, v3, v4
	s_delay_alu instid0(VALU_DEP_1) | instskip(NEXT) | instid1(VALU_DEP_1)
	v_add_nc_u32_e32 v5, v4, v5
	v_add_nc_u32_e32 v6, v5, v6
	s_delay_alu instid0(VALU_DEP_1) | instskip(NEXT) | instid1(VALU_DEP_1)
	v_add_nc_u32_e32 v30, v6, v7
	;; [unrolled: 3-line block ×3, first 2 shown]
	v_add_nc_u32_e32 v1, v0, v2
	ds_store_2addr_b64 v11, v[3:4], v[5:6] offset0:5 offset1:6
	ds_store_2addr_b64 v18, v[30:31], v[0:1] offset0:2 offset1:3
	s_waitcnt lgkmcnt(0)
	s_barrier
	buffer_gl0_inv
	ds_load_b32 v0, v29
	v_lshlrev_b32_e32 v1, 2, v28
	s_waitcnt lgkmcnt(0)
	s_barrier
	buffer_gl0_inv
	v_lshl_add_u32 v0, v0, 2, v1
	ds_store_b32 v0, v27
	s_waitcnt lgkmcnt(0)
	s_barrier
	buffer_gl0_inv
	ds_load_b32 v27, v23
	s_waitcnt lgkmcnt(0)
	s_barrier
	buffer_gl0_inv
	v_bfe_u32 v0, v27, 16, 1
	v_lshrrev_b32_e32 v1, 16, v27
	s_delay_alu instid0(VALU_DEP_2) | instskip(NEXT) | instid1(VALU_DEP_1)
	v_add_co_u32 v0, s11, v0, -1
	v_cndmask_b32_e64 v2, 0, 1, s11
	s_delay_alu instid0(VALU_DEP_3)
	v_lshlrev_b32_e32 v3, 30, v1
	v_lshlrev_b32_e32 v4, 29, v1
	;; [unrolled: 1-line block ×4, first 2 shown]
	v_cmp_ne_u32_e64 s11, 0, v2
	v_not_b32_e32 v2, v3
	v_cmp_gt_i32_e64 s12, 0, v3
	v_not_b32_e32 v3, v4
	v_lshlrev_b32_e32 v7, 26, v1
	v_xor_b32_e32 v0, s11, v0
	v_ashrrev_i32_e32 v2, 31, v2
	v_cmp_gt_i32_e64 s11, 0, v4
	v_not_b32_e32 v4, v5
	v_ashrrev_i32_e32 v3, 31, v3
	v_and_b32_e32 v0, exec_lo, v0
	v_xor_b32_e32 v2, s12, v2
	v_cmp_gt_i32_e64 s12, 0, v5
	v_not_b32_e32 v5, v6
	v_ashrrev_i32_e32 v4, 31, v4
	v_xor_b32_e32 v3, s11, v3
	v_and_b32_e32 v0, v0, v2
	v_lshlrev_b32_e32 v28, 25, v1
	v_cmp_gt_i32_e64 s11, 0, v6
	v_not_b32_e32 v2, v7
	v_ashrrev_i32_e32 v5, 31, v5
	v_xor_b32_e32 v4, s12, v4
	v_and_b32_e32 v0, v0, v3
	v_lshlrev_b32_e32 v1, 24, v1
	v_cmp_gt_i32_e64 s12, 0, v7
	v_not_b32_e32 v3, v28
	v_ashrrev_i32_e32 v2, 31, v2
	v_xor_b32_e32 v5, s11, v5
	v_and_b32_e32 v0, v0, v4
	v_cmp_gt_i32_e64 s11, 0, v28
	v_not_b32_e32 v4, v1
	v_ashrrev_i32_e32 v3, 31, v3
	v_xor_b32_e32 v2, s12, v2
	v_and_b32_e32 v0, v0, v5
	v_cmp_gt_i32_e64 s12, 0, v1
	v_ashrrev_i32_e32 v1, 31, v4
	v_xor_b32_e32 v3, s11, v3
	s_delay_alu instid0(VALU_DEP_4) | instskip(NEXT) | instid1(VALU_DEP_3)
	v_and_b32_e32 v0, v0, v2
	v_xor_b32_e32 v5, s12, v1
	v_dual_mov_b32 v1, s14 :: v_dual_mov_b32 v2, s15
	s_delay_alu instid0(VALU_DEP_3)
	v_dual_mov_b32 v3, s16 :: v_dual_and_b32 v0, v0, v3
	v_mov_b32_e32 v4, s17
	ds_store_2addr_b64 v11, v[1:2], v[3:4] offset0:5 offset1:6
	ds_store_2addr_b64 v18, v[1:2], v[3:4] offset0:2 offset1:3
	v_and_b32_e32 v0, v0, v5
	v_bfe_u32 v5, v27, 16, 8
	s_waitcnt lgkmcnt(0)
	s_barrier
	buffer_gl0_inv
	v_mbcnt_lo_u32_b32 v28, v0, 0
	v_mad_u32_u24 v1, v5, 10, v25
	v_cmp_ne_u32_e64 s12, 0, v0
	; wave barrier
	s_delay_alu instid0(VALU_DEP_3) | instskip(NEXT) | instid1(VALU_DEP_3)
	v_cmp_eq_u32_e64 s11, 0, v28
	v_lshl_add_u32 v29, v1, 2, 40
	s_delay_alu instid0(VALU_DEP_2) | instskip(NEXT) | instid1(SALU_CYCLE_1)
	s_and_b32 s12, s12, s11
	s_and_saveexec_b32 s11, s12
	s_cbranch_execz .LBB36_22
; %bb.21:                               ;   in Loop: Header=BB36_2 Depth=1
	v_bcnt_u32_b32 v0, v0, 0
	ds_store_b32 v29, v0
.LBB36_22:                              ;   in Loop: Header=BB36_2 Depth=1
	s_or_b32 exec_lo, exec_lo, s11
	; wave barrier
	s_waitcnt lgkmcnt(0)
	s_barrier
	buffer_gl0_inv
	ds_load_2addr_b64 v[4:7], v11 offset0:5 offset1:6
	ds_load_2addr_b64 v[0:3], v18 offset0:2 offset1:3
	s_waitcnt lgkmcnt(1)
	v_add_nc_u32_e32 v30, v5, v4
	s_delay_alu instid0(VALU_DEP_1) | instskip(SKIP_1) | instid1(VALU_DEP_1)
	v_add3_u32 v30, v30, v6, v7
	s_waitcnt lgkmcnt(0)
	v_add3_u32 v30, v30, v0, v1
	s_delay_alu instid0(VALU_DEP_1) | instskip(NEXT) | instid1(VALU_DEP_1)
	v_add3_u32 v3, v30, v2, v3
	v_mov_b32_dpp v30, v3 row_shr:1 row_mask:0xf bank_mask:0xf
	s_delay_alu instid0(VALU_DEP_1) | instskip(NEXT) | instid1(VALU_DEP_1)
	v_cndmask_b32_e64 v30, v30, 0, s1
	v_add_nc_u32_e32 v3, v30, v3
	s_delay_alu instid0(VALU_DEP_1) | instskip(NEXT) | instid1(VALU_DEP_1)
	v_mov_b32_dpp v30, v3 row_shr:2 row_mask:0xf bank_mask:0xf
	v_cndmask_b32_e64 v30, 0, v30, s2
	s_delay_alu instid0(VALU_DEP_1) | instskip(NEXT) | instid1(VALU_DEP_1)
	v_add_nc_u32_e32 v3, v3, v30
	v_mov_b32_dpp v30, v3 row_shr:4 row_mask:0xf bank_mask:0xf
	s_delay_alu instid0(VALU_DEP_1) | instskip(NEXT) | instid1(VALU_DEP_1)
	v_cndmask_b32_e64 v30, 0, v30, s3
	v_add_nc_u32_e32 v3, v3, v30
	s_delay_alu instid0(VALU_DEP_1) | instskip(NEXT) | instid1(VALU_DEP_1)
	v_mov_b32_dpp v30, v3 row_shr:8 row_mask:0xf bank_mask:0xf
	v_cndmask_b32_e64 v30, 0, v30, s4
	s_delay_alu instid0(VALU_DEP_1) | instskip(SKIP_3) | instid1(VALU_DEP_1)
	v_add_nc_u32_e32 v3, v3, v30
	ds_swizzle_b32 v30, v3 offset:swizzle(BROADCAST,32,15)
	s_waitcnt lgkmcnt(0)
	v_cndmask_b32_e64 v30, v30, 0, s5
	v_add_nc_u32_e32 v3, v3, v30
	s_and_saveexec_b32 s11, s10
	s_cbranch_execz .LBB36_24
; %bb.23:                               ;   in Loop: Header=BB36_2 Depth=1
	ds_store_b32 v19, v3
.LBB36_24:                              ;   in Loop: Header=BB36_2 Depth=1
	s_or_b32 exec_lo, exec_lo, s11
	s_waitcnt lgkmcnt(0)
	s_barrier
	buffer_gl0_inv
	s_and_saveexec_b32 s11, s6
	s_cbranch_execz .LBB36_26
; %bb.25:                               ;   in Loop: Header=BB36_2 Depth=1
	ds_load_b32 v30, v20
	s_waitcnt lgkmcnt(0)
	v_mov_b32_dpp v31, v30 row_shr:1 row_mask:0xf bank_mask:0xf
	s_delay_alu instid0(VALU_DEP_1) | instskip(NEXT) | instid1(VALU_DEP_1)
	v_cndmask_b32_e64 v31, v31, 0, s1
	v_add_nc_u32_e32 v30, v31, v30
	s_delay_alu instid0(VALU_DEP_1) | instskip(NEXT) | instid1(VALU_DEP_1)
	v_mov_b32_dpp v31, v30 row_shr:2 row_mask:0xf bank_mask:0xf
	v_cndmask_b32_e64 v31, 0, v31, s2
	s_delay_alu instid0(VALU_DEP_1) | instskip(NEXT) | instid1(VALU_DEP_1)
	v_add_nc_u32_e32 v30, v30, v31
	v_mov_b32_dpp v31, v30 row_shr:4 row_mask:0xf bank_mask:0xf
	s_delay_alu instid0(VALU_DEP_1) | instskip(NEXT) | instid1(VALU_DEP_1)
	v_cndmask_b32_e64 v31, 0, v31, s3
	v_add_nc_u32_e32 v30, v30, v31
	s_delay_alu instid0(VALU_DEP_1) | instskip(NEXT) | instid1(VALU_DEP_1)
	v_mov_b32_dpp v31, v30 row_shr:8 row_mask:0xf bank_mask:0xf
	v_cndmask_b32_e64 v31, 0, v31, s4
	s_delay_alu instid0(VALU_DEP_1)
	v_add_nc_u32_e32 v30, v30, v31
	ds_store_b32 v20, v30
.LBB36_26:                              ;   in Loop: Header=BB36_2 Depth=1
	s_or_b32 exec_lo, exec_lo, s11
	v_mov_b32_e32 v30, 0
	s_waitcnt lgkmcnt(0)
	s_barrier
	buffer_gl0_inv
	s_and_saveexec_b32 s11, s7
	s_cbranch_execz .LBB36_28
; %bb.27:                               ;   in Loop: Header=BB36_2 Depth=1
	ds_load_b32 v30, v22
.LBB36_28:                              ;   in Loop: Header=BB36_2 Depth=1
	s_or_b32 exec_lo, exec_lo, s11
	s_waitcnt lgkmcnt(0)
	v_add_nc_u32_e32 v3, v30, v3
	ds_bpermute_b32 v3, v21, v3
	s_waitcnt lgkmcnt(0)
	v_cndmask_b32_e64 v3, v3, v30, s0
	s_delay_alu instid0(VALU_DEP_1) | instskip(NEXT) | instid1(VALU_DEP_1)
	v_cndmask_b32_e64 v3, v3, 0, s8
	v_add_nc_u32_e32 v4, v3, v4
	s_delay_alu instid0(VALU_DEP_1) | instskip(NEXT) | instid1(VALU_DEP_1)
	v_add_nc_u32_e32 v5, v4, v5
	v_add_nc_u32_e32 v6, v5, v6
	s_delay_alu instid0(VALU_DEP_1) | instskip(NEXT) | instid1(VALU_DEP_1)
	v_add_nc_u32_e32 v30, v6, v7
	;; [unrolled: 3-line block ×3, first 2 shown]
	v_add_nc_u32_e32 v1, v0, v2
	ds_store_2addr_b64 v11, v[3:4], v[5:6] offset0:5 offset1:6
	ds_store_2addr_b64 v18, v[30:31], v[0:1] offset0:2 offset1:3
	s_waitcnt lgkmcnt(0)
	s_barrier
	buffer_gl0_inv
	ds_load_b32 v0, v29
	v_lshlrev_b32_e32 v1, 2, v28
	s_waitcnt lgkmcnt(0)
	s_barrier
	buffer_gl0_inv
	v_lshl_add_u32 v0, v0, 2, v1
	ds_store_b32 v0, v27
	s_waitcnt lgkmcnt(0)
	s_barrier
	buffer_gl0_inv
	ds_load_b32 v27, v23
	s_waitcnt lgkmcnt(0)
	s_barrier
	buffer_gl0_inv
	v_bfe_u32 v0, v27, 24, 1
	v_lshrrev_b32_e32 v5, 24, v27
	s_delay_alu instid0(VALU_DEP_2) | instskip(NEXT) | instid1(VALU_DEP_1)
	v_add_co_u32 v0, s11, v0, -1
	v_cndmask_b32_e64 v1, 0, 1, s11
	s_delay_alu instid0(VALU_DEP_3)
	v_lshlrev_b32_e32 v2, 30, v5
	v_lshlrev_b32_e32 v3, 29, v5
	;; [unrolled: 1-line block ×4, first 2 shown]
	v_cmp_ne_u32_e64 s11, 0, v1
	v_not_b32_e32 v1, v2
	v_cmp_gt_i32_e64 s12, 0, v2
	v_not_b32_e32 v2, v3
	v_lshlrev_b32_e32 v7, 26, v5
	v_xor_b32_e32 v0, s11, v0
	v_ashrrev_i32_e32 v1, 31, v1
	v_cmp_gt_i32_e64 s11, 0, v3
	v_not_b32_e32 v3, v4
	v_ashrrev_i32_e32 v2, 31, v2
	v_and_b32_e32 v0, exec_lo, v0
	v_xor_b32_e32 v1, s12, v1
	v_cmp_gt_i32_e64 s12, 0, v4
	v_not_b32_e32 v4, v6
	v_ashrrev_i32_e32 v3, 31, v3
	v_xor_b32_e32 v2, s11, v2
	v_and_b32_e32 v0, v0, v1
	v_lshlrev_b32_e32 v28, 25, v5
	v_cmp_gt_i32_e64 s11, 0, v6
	v_not_b32_e32 v1, v7
	v_ashrrev_i32_e32 v4, 31, v4
	v_xor_b32_e32 v3, s12, v3
	v_and_b32_e32 v0, v0, v2
	v_cmp_gt_i32_e64 s12, 0, v7
	v_not_b32_e32 v2, v28
	v_ashrrev_i32_e32 v1, 31, v1
	v_xor_b32_e32 v4, s11, v4
	v_and_b32_e32 v0, v0, v3
	v_not_b32_e32 v3, v27
	v_cmp_gt_i32_e64 s11, 0, v28
	v_ashrrev_i32_e32 v2, 31, v2
	v_xor_b32_e32 v1, s12, v1
	v_and_b32_e32 v0, v0, v4
	v_cmp_gt_i32_e64 s12, 0, v27
	v_ashrrev_i32_e32 v3, 31, v3
	v_xor_b32_e32 v2, s11, v2
	s_delay_alu instid0(VALU_DEP_4) | instskip(NEXT) | instid1(VALU_DEP_3)
	v_and_b32_e32 v0, v0, v1
	v_xor_b32_e32 v3, s12, v3
	s_delay_alu instid0(VALU_DEP_2) | instskip(SKIP_1) | instid1(VALU_DEP_2)
	v_dual_mov_b32 v1, s14 :: v_dual_and_b32 v0, v0, v2
	v_mov_b32_e32 v2, s15
	v_dual_mov_b32 v3, s16 :: v_dual_and_b32 v0, v0, v3
	v_mov_b32_e32 v4, s17
	ds_store_2addr_b64 v11, v[1:2], v[3:4] offset0:5 offset1:6
	ds_store_2addr_b64 v18, v[1:2], v[3:4] offset0:2 offset1:3
	v_mbcnt_lo_u32_b32 v28, v0, 0
	v_mad_u32_u24 v1, v5, 10, v25
	v_cmp_ne_u32_e64 s12, 0, v0
	s_waitcnt lgkmcnt(0)
	s_barrier
	v_cmp_eq_u32_e64 s11, 0, v28
	v_lshl_add_u32 v29, v1, 2, 40
	buffer_gl0_inv
	; wave barrier
	s_and_b32 s12, s12, s11
	s_delay_alu instid0(SALU_CYCLE_1)
	s_and_saveexec_b32 s11, s12
	s_cbranch_execz .LBB36_30
; %bb.29:                               ;   in Loop: Header=BB36_2 Depth=1
	v_bcnt_u32_b32 v0, v0, 0
	ds_store_b32 v29, v0
.LBB36_30:                              ;   in Loop: Header=BB36_2 Depth=1
	s_or_b32 exec_lo, exec_lo, s11
	; wave barrier
	s_waitcnt lgkmcnt(0)
	s_barrier
	buffer_gl0_inv
	ds_load_2addr_b64 v[4:7], v11 offset0:5 offset1:6
	ds_load_2addr_b64 v[0:3], v18 offset0:2 offset1:3
	s_waitcnt lgkmcnt(1)
	v_add_nc_u32_e32 v30, v5, v4
	s_delay_alu instid0(VALU_DEP_1) | instskip(SKIP_1) | instid1(VALU_DEP_1)
	v_add3_u32 v30, v30, v6, v7
	s_waitcnt lgkmcnt(0)
	v_add3_u32 v30, v30, v0, v1
	s_delay_alu instid0(VALU_DEP_1) | instskip(NEXT) | instid1(VALU_DEP_1)
	v_add3_u32 v3, v30, v2, v3
	v_mov_b32_dpp v30, v3 row_shr:1 row_mask:0xf bank_mask:0xf
	s_delay_alu instid0(VALU_DEP_1) | instskip(NEXT) | instid1(VALU_DEP_1)
	v_cndmask_b32_e64 v30, v30, 0, s1
	v_add_nc_u32_e32 v3, v30, v3
	s_delay_alu instid0(VALU_DEP_1) | instskip(NEXT) | instid1(VALU_DEP_1)
	v_mov_b32_dpp v30, v3 row_shr:2 row_mask:0xf bank_mask:0xf
	v_cndmask_b32_e64 v30, 0, v30, s2
	s_delay_alu instid0(VALU_DEP_1) | instskip(NEXT) | instid1(VALU_DEP_1)
	v_add_nc_u32_e32 v3, v3, v30
	v_mov_b32_dpp v30, v3 row_shr:4 row_mask:0xf bank_mask:0xf
	s_delay_alu instid0(VALU_DEP_1) | instskip(NEXT) | instid1(VALU_DEP_1)
	v_cndmask_b32_e64 v30, 0, v30, s3
	v_add_nc_u32_e32 v3, v3, v30
	s_delay_alu instid0(VALU_DEP_1) | instskip(NEXT) | instid1(VALU_DEP_1)
	v_mov_b32_dpp v30, v3 row_shr:8 row_mask:0xf bank_mask:0xf
	v_cndmask_b32_e64 v30, 0, v30, s4
	s_delay_alu instid0(VALU_DEP_1) | instskip(SKIP_3) | instid1(VALU_DEP_1)
	v_add_nc_u32_e32 v3, v3, v30
	ds_swizzle_b32 v30, v3 offset:swizzle(BROADCAST,32,15)
	s_waitcnt lgkmcnt(0)
	v_cndmask_b32_e64 v30, v30, 0, s5
	v_add_nc_u32_e32 v3, v3, v30
	s_and_saveexec_b32 s11, s10
	s_cbranch_execz .LBB36_32
; %bb.31:                               ;   in Loop: Header=BB36_2 Depth=1
	ds_store_b32 v19, v3
.LBB36_32:                              ;   in Loop: Header=BB36_2 Depth=1
	s_or_b32 exec_lo, exec_lo, s11
	s_waitcnt lgkmcnt(0)
	s_barrier
	buffer_gl0_inv
	s_and_saveexec_b32 s11, s6
	s_cbranch_execz .LBB36_34
; %bb.33:                               ;   in Loop: Header=BB36_2 Depth=1
	ds_load_b32 v30, v20
	s_waitcnt lgkmcnt(0)
	v_mov_b32_dpp v31, v30 row_shr:1 row_mask:0xf bank_mask:0xf
	s_delay_alu instid0(VALU_DEP_1) | instskip(NEXT) | instid1(VALU_DEP_1)
	v_cndmask_b32_e64 v31, v31, 0, s1
	v_add_nc_u32_e32 v30, v31, v30
	s_delay_alu instid0(VALU_DEP_1) | instskip(NEXT) | instid1(VALU_DEP_1)
	v_mov_b32_dpp v31, v30 row_shr:2 row_mask:0xf bank_mask:0xf
	v_cndmask_b32_e64 v31, 0, v31, s2
	s_delay_alu instid0(VALU_DEP_1) | instskip(NEXT) | instid1(VALU_DEP_1)
	v_add_nc_u32_e32 v30, v30, v31
	v_mov_b32_dpp v31, v30 row_shr:4 row_mask:0xf bank_mask:0xf
	s_delay_alu instid0(VALU_DEP_1) | instskip(NEXT) | instid1(VALU_DEP_1)
	v_cndmask_b32_e64 v31, 0, v31, s3
	v_add_nc_u32_e32 v30, v30, v31
	s_delay_alu instid0(VALU_DEP_1) | instskip(NEXT) | instid1(VALU_DEP_1)
	v_mov_b32_dpp v31, v30 row_shr:8 row_mask:0xf bank_mask:0xf
	v_cndmask_b32_e64 v31, 0, v31, s4
	s_delay_alu instid0(VALU_DEP_1)
	v_add_nc_u32_e32 v30, v30, v31
	ds_store_b32 v20, v30
.LBB36_34:                              ;   in Loop: Header=BB36_2 Depth=1
	s_or_b32 exec_lo, exec_lo, s11
	v_mov_b32_e32 v30, 0
	s_waitcnt lgkmcnt(0)
	s_barrier
	buffer_gl0_inv
	s_and_saveexec_b32 s11, s7
	s_cbranch_execz .LBB36_36
; %bb.35:                               ;   in Loop: Header=BB36_2 Depth=1
	ds_load_b32 v30, v22
.LBB36_36:                              ;   in Loop: Header=BB36_2 Depth=1
	s_or_b32 exec_lo, exec_lo, s11
	s_waitcnt lgkmcnt(0)
	v_add_nc_u32_e32 v3, v30, v3
	ds_bpermute_b32 v3, v21, v3
	s_waitcnt lgkmcnt(0)
	v_cndmask_b32_e64 v3, v3, v30, s0
	s_delay_alu instid0(VALU_DEP_1) | instskip(NEXT) | instid1(VALU_DEP_1)
	v_cndmask_b32_e64 v3, v3, 0, s8
	v_add_nc_u32_e32 v4, v3, v4
	s_delay_alu instid0(VALU_DEP_1) | instskip(NEXT) | instid1(VALU_DEP_1)
	v_add_nc_u32_e32 v5, v4, v5
	v_add_nc_u32_e32 v6, v5, v6
	s_delay_alu instid0(VALU_DEP_1) | instskip(NEXT) | instid1(VALU_DEP_1)
	v_add_nc_u32_e32 v30, v6, v7
	;; [unrolled: 3-line block ×3, first 2 shown]
	v_add_nc_u32_e32 v1, v0, v2
	ds_store_2addr_b64 v11, v[3:4], v[5:6] offset0:5 offset1:6
	ds_store_2addr_b64 v18, v[30:31], v[0:1] offset0:2 offset1:3
	s_waitcnt lgkmcnt(0)
	s_barrier
	buffer_gl0_inv
	ds_load_b32 v0, v29
	v_lshlrev_b32_e32 v1, 2, v28
	s_waitcnt lgkmcnt(0)
	s_barrier
	buffer_gl0_inv
	v_lshl_add_u32 v0, v0, 2, v1
	ds_store_b32 v0, v27
	s_waitcnt lgkmcnt(0)
	s_barrier
	buffer_gl0_inv
	ds_load_b32 v27, v20
	s_waitcnt lgkmcnt(0)
	s_barrier
	buffer_gl0_inv
	s_and_saveexec_b32 s11, vcc_lo
	s_cbranch_execz .LBB36_38
; %bb.37:                               ;   in Loop: Header=BB36_2 Depth=1
	ds_store_2addr_stride64_b32 v20, v26, v26 offset0:10 offset1:15
.LBB36_38:                              ;   in Loop: Header=BB36_2 Depth=1
	s_or_b32 exec_lo, exec_lo, s11
	v_xor_b32_e32 v0, 0x80000000, v27
	s_waitcnt lgkmcnt(0)
	s_barrier
	buffer_gl0_inv
	ds_store_b32 v20, v0
	s_waitcnt lgkmcnt(0)
	s_barrier
	buffer_gl0_inv
	s_and_saveexec_b32 s12, s9
	s_cbranch_execz .LBB36_41
; %bb.39:                               ;   in Loop: Header=BB36_2 Depth=1
	ds_load_b32 v1, v24
	s_waitcnt lgkmcnt(0)
	v_cmp_ne_u32_e64 s11, v1, v0
	s_delay_alu instid0(VALU_DEP_1)
	s_and_b32 exec_lo, exec_lo, s11
	s_cbranch_execz .LBB36_41
; %bb.40:                               ;   in Loop: Header=BB36_2 Depth=1
	v_lshlrev_b32_e32 v1, 2, v0
	ds_store_b32 v1, v10 offset:2560
	ds_load_b32 v1, v24
	s_waitcnt lgkmcnt(0)
	v_lshlrev_b32_e32 v1, 2, v1
	ds_store_b32 v1, v10 offset:3840
.LBB36_41:                              ;   in Loop: Header=BB36_2 Depth=1
	s_or_b32 exec_lo, exec_lo, s12
	s_waitcnt lgkmcnt(0)
	s_barrier
	buffer_gl0_inv
	s_and_saveexec_b32 s11, s8
	s_cbranch_execz .LBB36_43
; %bb.42:                               ;   in Loop: Header=BB36_2 Depth=1
	v_lshlrev_b32_e32 v0, 2, v0
	ds_store_b32 v0, v12 offset:2560
.LBB36_43:                              ;   in Loop: Header=BB36_2 Depth=1
	s_or_b32 exec_lo, exec_lo, s11
	s_waitcnt lgkmcnt(0)
	s_barrier
	buffer_gl0_inv
	s_and_saveexec_b32 s11, vcc_lo
	s_cbranch_execz .LBB36_1
; %bb.44:                               ;   in Loop: Header=BB36_2 Depth=1
	ds_load_2addr_stride64_b32 v[0:1], v20 offset0:10 offset1:15
	ds_load_b32 v2, v17
	s_waitcnt lgkmcnt(1)
	v_sub_nc_u32_e32 v0, v1, v0
	s_waitcnt lgkmcnt(0)
	s_delay_alu instid0(VALU_DEP_1)
	v_add_nc_u32_e32 v0, v0, v2
	ds_store_b32 v17, v0
	s_branch .LBB36_1
.LBB36_45:
	s_and_saveexec_b32 s0, vcc_lo
	s_cbranch_execz .LBB36_47
; %bb.46:
	ds_load_b32 v2, v17
	v_add_co_u32 v0, vcc_lo, s18, v8
	v_add_co_ci_u32_e32 v1, vcc_lo, s19, v9, vcc_lo
	s_waitcnt lgkmcnt(0)
	global_store_b32 v[0:1], v2, off
.LBB36_47:
	s_nop 0
	s_sendmsg sendmsg(MSG_DEALLOC_VGPRS)
	s_endpgm
	.section	.rodata,"a",@progbits
	.p2align	6, 0x0
	.amdhsa_kernel _Z6kernelI9histogramILN6hipcub23BlockHistogramAlgorithmE1EEiLj320ELj1ELj320ELj100EEvPKT0_PS4_
		.amdhsa_group_segment_fixed_size 11568
		.amdhsa_private_segment_fixed_size 0
		.amdhsa_kernarg_size 272
		.amdhsa_user_sgpr_count 15
		.amdhsa_user_sgpr_dispatch_ptr 0
		.amdhsa_user_sgpr_queue_ptr 0
		.amdhsa_user_sgpr_kernarg_segment_ptr 1
		.amdhsa_user_sgpr_dispatch_id 0
		.amdhsa_user_sgpr_private_segment_size 0
		.amdhsa_wavefront_size32 1
		.amdhsa_uses_dynamic_stack 0
		.amdhsa_enable_private_segment 0
		.amdhsa_system_sgpr_workgroup_id_x 1
		.amdhsa_system_sgpr_workgroup_id_y 0
		.amdhsa_system_sgpr_workgroup_id_z 0
		.amdhsa_system_sgpr_workgroup_info 0
		.amdhsa_system_vgpr_workitem_id 2
		.amdhsa_next_free_vgpr 32
		.amdhsa_next_free_sgpr 21
		.amdhsa_reserve_vcc 1
		.amdhsa_float_round_mode_32 0
		.amdhsa_float_round_mode_16_64 0
		.amdhsa_float_denorm_mode_32 3
		.amdhsa_float_denorm_mode_16_64 3
		.amdhsa_dx10_clamp 1
		.amdhsa_ieee_mode 1
		.amdhsa_fp16_overflow 0
		.amdhsa_workgroup_processor_mode 1
		.amdhsa_memory_ordered 1
		.amdhsa_forward_progress 0
		.amdhsa_shared_vgpr_count 0
		.amdhsa_exception_fp_ieee_invalid_op 0
		.amdhsa_exception_fp_denorm_src 0
		.amdhsa_exception_fp_ieee_div_zero 0
		.amdhsa_exception_fp_ieee_overflow 0
		.amdhsa_exception_fp_ieee_underflow 0
		.amdhsa_exception_fp_ieee_inexact 0
		.amdhsa_exception_int_div_zero 0
	.end_amdhsa_kernel
	.section	.text._Z6kernelI9histogramILN6hipcub23BlockHistogramAlgorithmE1EEiLj320ELj1ELj320ELj100EEvPKT0_PS4_,"axG",@progbits,_Z6kernelI9histogramILN6hipcub23BlockHistogramAlgorithmE1EEiLj320ELj1ELj320ELj100EEvPKT0_PS4_,comdat
.Lfunc_end36:
	.size	_Z6kernelI9histogramILN6hipcub23BlockHistogramAlgorithmE1EEiLj320ELj1ELj320ELj100EEvPKT0_PS4_, .Lfunc_end36-_Z6kernelI9histogramILN6hipcub23BlockHistogramAlgorithmE1EEiLj320ELj1ELj320ELj100EEvPKT0_PS4_
                                        ; -- End function
	.section	.AMDGPU.csdata,"",@progbits
; Kernel info:
; codeLenInByte = 4728
; NumSgprs: 23
; NumVgprs: 32
; ScratchSize: 0
; MemoryBound: 0
; FloatMode: 240
; IeeeMode: 1
; LDSByteSize: 11568 bytes/workgroup (compile time only)
; SGPRBlocks: 2
; VGPRBlocks: 3
; NumSGPRsForWavesPerEU: 23
; NumVGPRsForWavesPerEU: 32
; Occupancy: 15
; WaveLimiterHint : 0
; COMPUTE_PGM_RSRC2:SCRATCH_EN: 0
; COMPUTE_PGM_RSRC2:USER_SGPR: 15
; COMPUTE_PGM_RSRC2:TRAP_HANDLER: 0
; COMPUTE_PGM_RSRC2:TGID_X_EN: 1
; COMPUTE_PGM_RSRC2:TGID_Y_EN: 0
; COMPUTE_PGM_RSRC2:TGID_Z_EN: 0
; COMPUTE_PGM_RSRC2:TIDIG_COMP_CNT: 2
	.section	.text._Z6kernelI9histogramILN6hipcub23BlockHistogramAlgorithmE1EEiLj320ELj2ELj320ELj100EEvPKT0_PS4_,"axG",@progbits,_Z6kernelI9histogramILN6hipcub23BlockHistogramAlgorithmE1EEiLj320ELj2ELj320ELj100EEvPKT0_PS4_,comdat
	.protected	_Z6kernelI9histogramILN6hipcub23BlockHistogramAlgorithmE1EEiLj320ELj2ELj320ELj100EEvPKT0_PS4_ ; -- Begin function _Z6kernelI9histogramILN6hipcub23BlockHistogramAlgorithmE1EEiLj320ELj2ELj320ELj100EEvPKT0_PS4_
	.globl	_Z6kernelI9histogramILN6hipcub23BlockHistogramAlgorithmE1EEiLj320ELj2ELj320ELj100EEvPKT0_PS4_
	.p2align	8
	.type	_Z6kernelI9histogramILN6hipcub23BlockHistogramAlgorithmE1EEiLj320ELj2ELj320ELj100EEvPKT0_PS4_,@function
_Z6kernelI9histogramILN6hipcub23BlockHistogramAlgorithmE1EEiLj320ELj2ELj320ELj100EEvPKT0_PS4_: ; @_Z6kernelI9histogramILN6hipcub23BlockHistogramAlgorithmE1EEiLj320ELj2ELj320ELj100EEvPKT0_PS4_
; %bb.0:
	v_dual_mov_b32 v10, 0 :: v_dual_and_b32 v3, 0x3ff, v0
	s_load_b128 s[16:19], s[0:1], 0x0
	v_mbcnt_lo_u32_b32 v6, -1, 0
	s_load_b32 s1, s[0:1], 0x1c
	s_delay_alu instid0(VALU_DEP_2)
	v_mad_u64_u32 v[8:9], null, 0x140, s15, v[3:4]
	v_bfe_u32 v4, v0, 10, 10
	v_bfe_u32 v0, v0, 20, 10
	s_mov_b32 s14, 0
	v_lshlrev_b32_e32 v15, 5, v3
	s_mov_b32 s15, s14
	v_lshlrev_b32_e32 v5, 1, v6
	v_lshlrev_b32_e32 v9, 1, v8
	v_dual_mov_b32 v11, s14 :: v_dual_lshlrev_b32 v20, 1, v3
	v_mov_b32_e32 v12, s15
	v_mad_i32_i24 v23, 0xffffffe4, v3, v15
	s_delay_alu instid0(VALU_DEP_4)
	v_lshlrev_b64 v[1:2], 2, v[9:10]
	v_and_b32_e32 v9, 60, v5
	v_cmp_gt_u32_e64 s0, 0x140, v3
	v_add_nc_u32_e32 v17, 40, v15
	v_cmp_gt_u32_e64 s8, 10, v3
	v_cmp_lt_u32_e64 s9, 31, v3
	s_waitcnt lgkmcnt(0)
	v_add_co_u32 v1, vcc_lo, s16, v1
	v_add_co_ci_u32_e32 v2, vcc_lo, s17, v2, vcc_lo
	s_lshr_b32 s2, s1, 16
	s_and_b32 s1, s1, 0xffff
	v_mad_u32_u24 v0, v0, s2, v4
	global_load_b64 v[1:2], v[1:2], off
	s_mov_b32 s16, s14
	s_mov_b32 s17, s14
	v_and_b32_e32 v7, 1, v6
	v_mad_u64_u32 v[4:5], null, v0, s1, v[3:4]
	v_dual_mov_b32 v13, s16 :: v_dual_and_b32 v0, 0x1e0, v3
	v_mov_b32_e32 v14, s17
	s_delay_alu instid0(VALU_DEP_4) | instskip(SKIP_1) | instid1(VALU_DEP_4)
	v_cmp_eq_u32_e64 s1, 0, v7
	v_add_nc_u32_e32 v7, -1, v6
	v_min_u32_e32 v0, 0x120, v0
	v_lshrrev_b32_e32 v18, 5, v4
	v_dual_mov_b32 v29, 0x280 :: v_dual_and_b32 v4, 16, v6
	s_delay_alu instid0(VALU_DEP_4) | instskip(NEXT) | instid1(VALU_DEP_4)
	v_cmp_gt_i32_e32 vcc_lo, 0, v7
	v_or_b32_e32 v0, 31, v0
	v_and_b32_e32 v5, 15, v6
	s_delay_alu instid0(VALU_DEP_4)
	v_cmp_eq_u32_e64 s6, 0, v4
	v_lshrrev_b32_e32 v4, 3, v3
	v_or_b32_e32 v16, 64, v9
	v_cmp_eq_u32_e64 s7, v0, v3
	v_cndmask_b32_e32 v0, v7, v6, vcc_lo
	v_cmp_eq_u32_e64 s2, 0, v5
	v_and_b32_e32 v22, 60, v4
	v_lshlrev_b32_e32 v4, 2, v3
	v_cmp_lt_u32_e64 s3, 1, v5
	v_lshlrev_b32_e32 v21, 2, v0
	v_and_or_b32 v0, 0x3c0, v20, v6
	v_cmp_lt_u32_e64 s4, 3, v5
	v_cmp_lt_u32_e64 s5, 7, v5
	v_cmp_eq_u32_e64 s10, 0, v6
	v_cmp_eq_u32_e64 s11, 0, v3
	v_cmp_ne_u32_e64 s12, 0, v3
	v_add_nc_u32_e32 v24, -4, v22
	v_lshlrev_b32_e32 v25, 2, v0
	v_add_nc_u32_e32 v26, v23, v4
	v_or_b32_e32 v27, 1, v20
	v_add_nc_u32_e32 v19, 0x2830, v4
	v_add_nc_u32_e32 v28, -4, v23
	s_branch .LBB37_2
.LBB37_1:                               ;   in Loop: Header=BB37_2 Depth=1
	s_or_b32 exec_lo, exec_lo, s13
	s_add_i32 s14, s14, 1
	s_delay_alu instid0(SALU_CYCLE_1)
	s_cmpk_lg_i32 s14, 0x64
	s_cbranch_scc0 .LBB37_29
.LBB37_2:                               ; =>This Loop Header: Depth=1
                                        ;     Child Loop BB37_6 Depth 2
	s_and_saveexec_b32 s13, s0
	s_cbranch_execz .LBB37_4
; %bb.3:                                ;   in Loop: Header=BB37_2 Depth=1
	ds_store_b32 v19, v10
.LBB37_4:                               ;   in Loop: Header=BB37_2 Depth=1
	s_or_b32 exec_lo, exec_lo, s13
	s_waitcnt vmcnt(0)
	v_xor_b32_e32 v0, 0x80000000, v1
	v_xor_b32_e32 v1, 0x80000000, v2
	s_mov_b32 s15, 0
	s_waitcnt lgkmcnt(0)
	s_barrier
	ds_bpermute_b32 v2, v9, v0
	ds_bpermute_b32 v3, v9, v1
	;; [unrolled: 1-line block ×4, first 2 shown]
	s_waitcnt lgkmcnt(0)
	buffer_gl0_inv
	s_barrier
	v_cndmask_b32_e64 v0, v3, v2, s1
	v_cndmask_b32_e64 v1, v1, v4, s1
	s_branch .LBB37_6
.LBB37_5:                               ;   in Loop: Header=BB37_6 Depth=2
	s_delay_alu instid0(VALU_DEP_2) | instskip(NEXT) | instid1(VALU_DEP_2)
	v_lshlrev_b32_e32 v0, 2, v3
	v_lshlrev_b32_e32 v1, 2, v2
	s_barrier
	buffer_gl0_inv
	ds_store_b32 v0, v30
	ds_store_b32 v1, v31
	s_waitcnt lgkmcnt(0)
	s_barrier
	buffer_gl0_inv
	ds_load_2addr_b32 v[0:1], v25 offset1:32
	s_add_i32 s15, s15, 8
	s_waitcnt lgkmcnt(0)
	s_barrier
	s_cbranch_execz .LBB37_18
.LBB37_6:                               ;   Parent Loop BB37_2 Depth=1
                                        ; =>  This Inner Loop Header: Depth=2
	s_delay_alu instid0(VALU_DEP_2)
	v_mov_b32_e32 v30, v0
	buffer_gl0_inv
	ds_store_2addr_b64 v15, v[11:12], v[13:14] offset0:5 offset1:6
	ds_store_2addr_b64 v17, v[11:12], v[13:14] offset0:2 offset1:3
	s_waitcnt lgkmcnt(0)
	s_barrier
	v_lshrrev_b32_e32 v2, s15, v30
	buffer_gl0_inv
	; wave barrier
	v_lshlrev_b32_e32 v5, 29, v2
	v_bfe_u32 v0, v30, s15, 1
	v_lshlrev_b32_e32 v4, 30, v2
	v_lshlrev_b32_e32 v6, 28, v2
	v_lshlrev_b32_e32 v7, 27, v2
	v_lshlrev_b32_e32 v31, 26, v2
	v_add_co_u32 v0, s13, v0, -1
	s_delay_alu instid0(VALU_DEP_1) | instskip(SKIP_3) | instid1(VALU_DEP_4)
	v_cndmask_b32_e64 v3, 0, 1, s13
	v_cmp_gt_i32_e64 s13, 0, v4
	v_lshlrev_b32_e32 v32, 25, v2
	v_lshlrev_b32_e32 v2, 24, v2
	v_cmp_ne_u32_e32 vcc_lo, 0, v3
	v_not_b32_e32 v3, v4
	v_not_b32_e32 v4, v5
	v_xor_b32_e32 v0, vcc_lo, v0
	s_delay_alu instid0(VALU_DEP_3)
	v_ashrrev_i32_e32 v3, 31, v3
	v_cmp_gt_i32_e32 vcc_lo, 0, v5
	v_not_b32_e32 v5, v6
	v_ashrrev_i32_e32 v4, 31, v4
	v_and_b32_e32 v0, exec_lo, v0
	v_xor_b32_e32 v3, s13, v3
	v_cmp_gt_i32_e64 s13, 0, v6
	v_not_b32_e32 v6, v7
	v_ashrrev_i32_e32 v5, 31, v5
	v_xor_b32_e32 v4, vcc_lo, v4
	v_and_b32_e32 v0, v0, v3
	v_cmp_gt_i32_e32 vcc_lo, 0, v7
	v_not_b32_e32 v3, v31
	v_ashrrev_i32_e32 v6, 31, v6
	v_xor_b32_e32 v5, s13, v5
	v_and_b32_e32 v0, v0, v4
	v_cmp_gt_i32_e64 s13, 0, v31
	v_mov_b32_e32 v31, v1
	v_not_b32_e32 v4, v32
	v_ashrrev_i32_e32 v3, 31, v3
	v_xor_b32_e32 v6, vcc_lo, v6
	v_and_b32_e32 v0, v0, v5
	v_cmp_gt_i32_e32 vcc_lo, 0, v32
	v_not_b32_e32 v5, v2
	v_ashrrev_i32_e32 v4, 31, v4
	v_xor_b32_e32 v3, s13, v3
	v_and_b32_e32 v0, v0, v6
	v_cmp_gt_i32_e64 s13, 0, v2
	v_ashrrev_i32_e32 v2, 31, v5
	v_xor_b32_e32 v4, vcc_lo, v4
	v_bfe_u32 v1, v30, s15, 8
	v_and_b32_e32 v0, v0, v3
	s_delay_alu instid0(VALU_DEP_4) | instskip(NEXT) | instid1(VALU_DEP_3)
	v_xor_b32_e32 v2, s13, v2
	v_mad_u32_u24 v1, v1, 10, v18
	s_delay_alu instid0(VALU_DEP_3) | instskip(NEXT) | instid1(VALU_DEP_2)
	v_and_b32_e32 v0, v0, v4
	v_lshl_add_u32 v33, v1, 2, 40
	s_delay_alu instid0(VALU_DEP_2) | instskip(NEXT) | instid1(VALU_DEP_1)
	v_and_b32_e32 v0, v0, v2
	v_mbcnt_lo_u32_b32 v32, v0, 0
	v_cmp_ne_u32_e64 s13, 0, v0
	s_delay_alu instid0(VALU_DEP_2) | instskip(NEXT) | instid1(VALU_DEP_2)
	v_cmp_eq_u32_e32 vcc_lo, 0, v32
	s_and_b32 s16, s13, vcc_lo
	s_delay_alu instid0(SALU_CYCLE_1)
	s_and_saveexec_b32 s13, s16
	s_cbranch_execz .LBB37_8
; %bb.7:                                ;   in Loop: Header=BB37_6 Depth=2
	v_bcnt_u32_b32 v0, v0, 0
	ds_store_b32 v33, v0
.LBB37_8:                               ;   in Loop: Header=BB37_6 Depth=2
	s_or_b32 exec_lo, exec_lo, s13
	v_bfe_u32 v0, v31, s15, 1
	v_lshrrev_b32_e32 v1, s15, v31
	; wave barrier
	s_delay_alu instid0(VALU_DEP_2) | instskip(NEXT) | instid1(VALU_DEP_1)
	v_add_co_u32 v0, s13, v0, -1
	v_cndmask_b32_e64 v2, 0, 1, s13
	s_delay_alu instid0(VALU_DEP_3)
	v_lshlrev_b32_e32 v3, 30, v1
	v_lshlrev_b32_e32 v4, 29, v1
	;; [unrolled: 1-line block ×4, first 2 shown]
	v_cmp_ne_u32_e32 vcc_lo, 0, v2
	v_not_b32_e32 v2, v3
	v_cmp_gt_i32_e64 s13, 0, v3
	v_not_b32_e32 v3, v4
	v_lshlrev_b32_e32 v7, 26, v1
	v_xor_b32_e32 v0, vcc_lo, v0
	v_ashrrev_i32_e32 v2, 31, v2
	v_cmp_gt_i32_e32 vcc_lo, 0, v4
	v_not_b32_e32 v4, v5
	v_ashrrev_i32_e32 v3, 31, v3
	v_and_b32_e32 v0, exec_lo, v0
	v_xor_b32_e32 v2, s13, v2
	v_cmp_gt_i32_e64 s13, 0, v5
	v_not_b32_e32 v5, v6
	v_ashrrev_i32_e32 v4, 31, v4
	v_xor_b32_e32 v3, vcc_lo, v3
	v_and_b32_e32 v0, v0, v2
	v_cmp_gt_i32_e32 vcc_lo, 0, v6
	v_not_b32_e32 v2, v7
	v_ashrrev_i32_e32 v5, 31, v5
	v_xor_b32_e32 v4, s13, v4
	v_and_b32_e32 v0, v0, v3
	v_lshlrev_b32_e32 v3, 25, v1
	v_cmp_gt_i32_e64 s13, 0, v7
	v_ashrrev_i32_e32 v2, 31, v2
	v_xor_b32_e32 v5, vcc_lo, v5
	v_and_b32_e32 v0, v0, v4
	v_not_b32_e32 v6, v3
	v_lshlrev_b32_e32 v1, 24, v1
	v_bfe_u32 v4, v31, s15, 8
	v_xor_b32_e32 v2, s13, v2
	v_and_b32_e32 v0, v0, v5
	v_cmp_gt_i32_e32 vcc_lo, 0, v3
	v_ashrrev_i32_e32 v3, 31, v6
	v_not_b32_e32 v5, v1
	v_mul_u32_u24_e32 v4, 10, v4
	v_and_b32_e32 v0, v0, v2
	s_delay_alu instid0(VALU_DEP_4) | instskip(SKIP_3) | instid1(VALU_DEP_4)
	v_xor_b32_e32 v2, vcc_lo, v3
	v_cmp_gt_i32_e32 vcc_lo, 0, v1
	v_ashrrev_i32_e32 v1, 31, v5
	v_add_lshl_u32 v3, v4, v18, 2
	v_and_b32_e32 v0, v0, v2
	s_delay_alu instid0(VALU_DEP_3) | instskip(SKIP_3) | instid1(VALU_DEP_1)
	v_xor_b32_e32 v1, vcc_lo, v1
	ds_load_b32 v34, v3 offset:40
	v_add_nc_u32_e32 v36, 40, v3
	; wave barrier
	v_and_b32_e32 v0, v0, v1
	v_mbcnt_lo_u32_b32 v35, v0, 0
	v_cmp_ne_u32_e64 s13, 0, v0
	s_delay_alu instid0(VALU_DEP_2) | instskip(NEXT) | instid1(VALU_DEP_2)
	v_cmp_eq_u32_e32 vcc_lo, 0, v35
	s_and_b32 s16, s13, vcc_lo
	s_delay_alu instid0(SALU_CYCLE_1)
	s_and_saveexec_b32 s13, s16
	s_cbranch_execz .LBB37_10
; %bb.9:                                ;   in Loop: Header=BB37_6 Depth=2
	s_waitcnt lgkmcnt(0)
	v_bcnt_u32_b32 v0, v0, v34
	ds_store_b32 v36, v0
.LBB37_10:                              ;   in Loop: Header=BB37_6 Depth=2
	s_or_b32 exec_lo, exec_lo, s13
	; wave barrier
	s_waitcnt lgkmcnt(0)
	s_barrier
	buffer_gl0_inv
	ds_load_2addr_b64 v[4:7], v15 offset0:5 offset1:6
	ds_load_2addr_b64 v[0:3], v17 offset0:2 offset1:3
	s_waitcnt lgkmcnt(1)
	v_add_nc_u32_e32 v37, v5, v4
	s_delay_alu instid0(VALU_DEP_1) | instskip(SKIP_1) | instid1(VALU_DEP_1)
	v_add3_u32 v37, v37, v6, v7
	s_waitcnt lgkmcnt(0)
	v_add3_u32 v37, v37, v0, v1
	s_delay_alu instid0(VALU_DEP_1) | instskip(NEXT) | instid1(VALU_DEP_1)
	v_add3_u32 v3, v37, v2, v3
	v_mov_b32_dpp v37, v3 row_shr:1 row_mask:0xf bank_mask:0xf
	s_delay_alu instid0(VALU_DEP_1) | instskip(NEXT) | instid1(VALU_DEP_1)
	v_cndmask_b32_e64 v37, v37, 0, s2
	v_add_nc_u32_e32 v3, v37, v3
	s_delay_alu instid0(VALU_DEP_1) | instskip(NEXT) | instid1(VALU_DEP_1)
	v_mov_b32_dpp v37, v3 row_shr:2 row_mask:0xf bank_mask:0xf
	v_cndmask_b32_e64 v37, 0, v37, s3
	s_delay_alu instid0(VALU_DEP_1) | instskip(NEXT) | instid1(VALU_DEP_1)
	v_add_nc_u32_e32 v3, v3, v37
	v_mov_b32_dpp v37, v3 row_shr:4 row_mask:0xf bank_mask:0xf
	s_delay_alu instid0(VALU_DEP_1) | instskip(NEXT) | instid1(VALU_DEP_1)
	v_cndmask_b32_e64 v37, 0, v37, s4
	v_add_nc_u32_e32 v3, v3, v37
	s_delay_alu instid0(VALU_DEP_1) | instskip(NEXT) | instid1(VALU_DEP_1)
	v_mov_b32_dpp v37, v3 row_shr:8 row_mask:0xf bank_mask:0xf
	v_cndmask_b32_e64 v37, 0, v37, s5
	s_delay_alu instid0(VALU_DEP_1) | instskip(SKIP_3) | instid1(VALU_DEP_1)
	v_add_nc_u32_e32 v3, v3, v37
	ds_swizzle_b32 v37, v3 offset:swizzle(BROADCAST,32,15)
	s_waitcnt lgkmcnt(0)
	v_cndmask_b32_e64 v37, v37, 0, s6
	v_add_nc_u32_e32 v3, v3, v37
	s_and_saveexec_b32 s13, s7
	s_cbranch_execz .LBB37_12
; %bb.11:                               ;   in Loop: Header=BB37_6 Depth=2
	ds_store_b32 v22, v3
.LBB37_12:                              ;   in Loop: Header=BB37_6 Depth=2
	s_or_b32 exec_lo, exec_lo, s13
	s_waitcnt lgkmcnt(0)
	s_barrier
	buffer_gl0_inv
	s_and_saveexec_b32 s13, s8
	s_cbranch_execz .LBB37_14
; %bb.13:                               ;   in Loop: Header=BB37_6 Depth=2
	ds_load_b32 v37, v23
	s_waitcnt lgkmcnt(0)
	v_mov_b32_dpp v38, v37 row_shr:1 row_mask:0xf bank_mask:0xf
	s_delay_alu instid0(VALU_DEP_1) | instskip(NEXT) | instid1(VALU_DEP_1)
	v_cndmask_b32_e64 v38, v38, 0, s2
	v_add_nc_u32_e32 v37, v38, v37
	s_delay_alu instid0(VALU_DEP_1) | instskip(NEXT) | instid1(VALU_DEP_1)
	v_mov_b32_dpp v38, v37 row_shr:2 row_mask:0xf bank_mask:0xf
	v_cndmask_b32_e64 v38, 0, v38, s3
	s_delay_alu instid0(VALU_DEP_1) | instskip(NEXT) | instid1(VALU_DEP_1)
	v_add_nc_u32_e32 v37, v37, v38
	v_mov_b32_dpp v38, v37 row_shr:4 row_mask:0xf bank_mask:0xf
	s_delay_alu instid0(VALU_DEP_1) | instskip(NEXT) | instid1(VALU_DEP_1)
	v_cndmask_b32_e64 v38, 0, v38, s4
	v_add_nc_u32_e32 v37, v37, v38
	s_delay_alu instid0(VALU_DEP_1) | instskip(NEXT) | instid1(VALU_DEP_1)
	v_mov_b32_dpp v38, v37 row_shr:8 row_mask:0xf bank_mask:0xf
	v_cndmask_b32_e64 v38, 0, v38, s5
	s_delay_alu instid0(VALU_DEP_1)
	v_add_nc_u32_e32 v37, v37, v38
	ds_store_b32 v23, v37
.LBB37_14:                              ;   in Loop: Header=BB37_6 Depth=2
	s_or_b32 exec_lo, exec_lo, s13
	v_mov_b32_e32 v37, 0
	s_waitcnt lgkmcnt(0)
	s_barrier
	buffer_gl0_inv
	s_and_saveexec_b32 s13, s9
	s_cbranch_execz .LBB37_16
; %bb.15:                               ;   in Loop: Header=BB37_6 Depth=2
	ds_load_b32 v37, v24
.LBB37_16:                              ;   in Loop: Header=BB37_6 Depth=2
	s_or_b32 exec_lo, exec_lo, s13
	s_waitcnt lgkmcnt(0)
	v_add_nc_u32_e32 v3, v37, v3
	s_cmp_gt_u32 s15, 23
	ds_bpermute_b32 v3, v21, v3
	s_waitcnt lgkmcnt(0)
	v_cndmask_b32_e64 v3, v3, v37, s10
	s_delay_alu instid0(VALU_DEP_1) | instskip(NEXT) | instid1(VALU_DEP_1)
	v_cndmask_b32_e64 v3, v3, 0, s11
	v_add_nc_u32_e32 v4, v3, v4
	s_delay_alu instid0(VALU_DEP_1) | instskip(NEXT) | instid1(VALU_DEP_1)
	v_add_nc_u32_e32 v5, v4, v5
	v_add_nc_u32_e32 v6, v5, v6
	s_delay_alu instid0(VALU_DEP_1) | instskip(NEXT) | instid1(VALU_DEP_1)
	v_add_nc_u32_e32 v37, v6, v7
	v_add_nc_u32_e32 v38, v37, v0
	s_delay_alu instid0(VALU_DEP_1) | instskip(NEXT) | instid1(VALU_DEP_1)
	v_add_nc_u32_e32 v0, v38, v1
	v_add_nc_u32_e32 v1, v0, v2
	ds_store_2addr_b64 v15, v[3:4], v[5:6] offset0:5 offset1:6
	ds_store_2addr_b64 v17, v[37:38], v[0:1] offset0:2 offset1:3
	s_waitcnt lgkmcnt(0)
	s_barrier
	buffer_gl0_inv
	ds_load_b32 v0, v33
	ds_load_b32 v1, v36
	s_waitcnt lgkmcnt(1)
	v_add_nc_u32_e32 v3, v0, v32
	s_waitcnt lgkmcnt(0)
	v_add3_u32 v2, v35, v34, v1
	s_cbranch_scc0 .LBB37_5
; %bb.17:                               ;   in Loop: Header=BB37_2 Depth=1
                                        ; implicit-def: $vgpr1
                                        ; implicit-def: $sgpr15
.LBB37_18:                              ;   in Loop: Header=BB37_2 Depth=1
	s_delay_alu instid0(VALU_DEP_2) | instskip(NEXT) | instid1(VALU_DEP_2)
	v_lshlrev_b32_e32 v0, 2, v3
	v_lshlrev_b32_e32 v1, 2, v2
	s_barrier
	buffer_gl0_inv
	ds_store_b32 v0, v30
	ds_store_b32 v1, v31
	s_waitcnt lgkmcnt(0)
	s_barrier
	buffer_gl0_inv
	ds_load_b64 v[3:4], v26
	s_waitcnt lgkmcnt(0)
	s_barrier
	buffer_gl0_inv
	s_and_saveexec_b32 s13, s0
	s_cbranch_execz .LBB37_20
; %bb.19:                               ;   in Loop: Header=BB37_2 Depth=1
	ds_store_2addr_stride64_b32 v23, v29, v29 offset0:10 offset1:15
.LBB37_20:                              ;   in Loop: Header=BB37_2 Depth=1
	s_or_b32 exec_lo, exec_lo, s13
	v_xor_b32_e32 v1, 0x80000000, v3
	v_xor_b32_e32 v2, 0x80000000, v4
	s_mov_b32 s13, exec_lo
	s_waitcnt lgkmcnt(0)
	s_barrier
	v_lshlrev_b32_e32 v0, 2, v1
	buffer_gl0_inv
	ds_store_b32 v23, v2
	v_cmpx_ne_u32_e64 v3, v4
	s_cbranch_execz .LBB37_22
; %bb.21:                               ;   in Loop: Header=BB37_2 Depth=1
	v_lshlrev_b32_e32 v3, 2, v2
	ds_store_b32 v3, v27 offset:2560
	ds_store_b32 v0, v27 offset:3840
.LBB37_22:                              ;   in Loop: Header=BB37_2 Depth=1
	s_or_b32 exec_lo, exec_lo, s13
	s_waitcnt lgkmcnt(0)
	s_barrier
	buffer_gl0_inv
	s_and_saveexec_b32 s13, s12
	s_cbranch_execz .LBB37_25
; %bb.23:                               ;   in Loop: Header=BB37_2 Depth=1
	ds_load_b32 v3, v28
	s_waitcnt lgkmcnt(0)
	v_cmp_ne_u32_e32 vcc_lo, v3, v1
	s_and_b32 exec_lo, exec_lo, vcc_lo
	s_cbranch_execz .LBB37_25
; %bb.24:                               ;   in Loop: Header=BB37_2 Depth=1
	ds_store_b32 v0, v20 offset:2560
	ds_load_b32 v3, v28
	s_waitcnt lgkmcnt(0)
	v_lshlrev_b32_e32 v3, 2, v3
	ds_store_b32 v3, v20 offset:3840
.LBB37_25:                              ;   in Loop: Header=BB37_2 Depth=1
	s_or_b32 exec_lo, exec_lo, s13
	s_waitcnt lgkmcnt(0)
	s_barrier
	buffer_gl0_inv
	s_and_saveexec_b32 s13, s11
	s_cbranch_execz .LBB37_27
; %bb.26:                               ;   in Loop: Header=BB37_2 Depth=1
	ds_store_b32 v0, v10 offset:2560
.LBB37_27:                              ;   in Loop: Header=BB37_2 Depth=1
	s_or_b32 exec_lo, exec_lo, s13
	s_waitcnt lgkmcnt(0)
	s_barrier
	buffer_gl0_inv
	s_and_saveexec_b32 s13, s0
	s_cbranch_execz .LBB37_1
; %bb.28:                               ;   in Loop: Header=BB37_2 Depth=1
	ds_load_2addr_stride64_b32 v[3:4], v23 offset0:10 offset1:15
	ds_load_b32 v0, v19
	s_waitcnt lgkmcnt(1)
	v_sub_nc_u32_e32 v3, v4, v3
	s_waitcnt lgkmcnt(0)
	s_delay_alu instid0(VALU_DEP_1)
	v_add_nc_u32_e32 v0, v3, v0
	ds_store_b32 v19, v0
	s_branch .LBB37_1
.LBB37_29:
	s_and_saveexec_b32 s1, s0
	s_cbranch_execz .LBB37_31
; %bb.30:
	ds_load_b32 v2, v19
	v_mov_b32_e32 v9, 0
	s_delay_alu instid0(VALU_DEP_1) | instskip(NEXT) | instid1(VALU_DEP_1)
	v_lshlrev_b64 v[0:1], 2, v[8:9]
	v_add_co_u32 v0, vcc_lo, s18, v0
	s_delay_alu instid0(VALU_DEP_2)
	v_add_co_ci_u32_e32 v1, vcc_lo, s19, v1, vcc_lo
	s_waitcnt lgkmcnt(0)
	global_store_b32 v[0:1], v2, off
.LBB37_31:
	s_nop 0
	s_sendmsg sendmsg(MSG_DEALLOC_VGPRS)
	s_endpgm
	.section	.rodata,"a",@progbits
	.p2align	6, 0x0
	.amdhsa_kernel _Z6kernelI9histogramILN6hipcub23BlockHistogramAlgorithmE1EEiLj320ELj2ELj320ELj100EEvPKT0_PS4_
		.amdhsa_group_segment_fixed_size 11568
		.amdhsa_private_segment_fixed_size 0
		.amdhsa_kernarg_size 272
		.amdhsa_user_sgpr_count 15
		.amdhsa_user_sgpr_dispatch_ptr 0
		.amdhsa_user_sgpr_queue_ptr 0
		.amdhsa_user_sgpr_kernarg_segment_ptr 1
		.amdhsa_user_sgpr_dispatch_id 0
		.amdhsa_user_sgpr_private_segment_size 0
		.amdhsa_wavefront_size32 1
		.amdhsa_uses_dynamic_stack 0
		.amdhsa_enable_private_segment 0
		.amdhsa_system_sgpr_workgroup_id_x 1
		.amdhsa_system_sgpr_workgroup_id_y 0
		.amdhsa_system_sgpr_workgroup_id_z 0
		.amdhsa_system_sgpr_workgroup_info 0
		.amdhsa_system_vgpr_workitem_id 2
		.amdhsa_next_free_vgpr 39
		.amdhsa_next_free_sgpr 20
		.amdhsa_reserve_vcc 1
		.amdhsa_float_round_mode_32 0
		.amdhsa_float_round_mode_16_64 0
		.amdhsa_float_denorm_mode_32 3
		.amdhsa_float_denorm_mode_16_64 3
		.amdhsa_dx10_clamp 1
		.amdhsa_ieee_mode 1
		.amdhsa_fp16_overflow 0
		.amdhsa_workgroup_processor_mode 1
		.amdhsa_memory_ordered 1
		.amdhsa_forward_progress 0
		.amdhsa_shared_vgpr_count 0
		.amdhsa_exception_fp_ieee_invalid_op 0
		.amdhsa_exception_fp_denorm_src 0
		.amdhsa_exception_fp_ieee_div_zero 0
		.amdhsa_exception_fp_ieee_overflow 0
		.amdhsa_exception_fp_ieee_underflow 0
		.amdhsa_exception_fp_ieee_inexact 0
		.amdhsa_exception_int_div_zero 0
	.end_amdhsa_kernel
	.section	.text._Z6kernelI9histogramILN6hipcub23BlockHistogramAlgorithmE1EEiLj320ELj2ELj320ELj100EEvPKT0_PS4_,"axG",@progbits,_Z6kernelI9histogramILN6hipcub23BlockHistogramAlgorithmE1EEiLj320ELj2ELj320ELj100EEvPKT0_PS4_,comdat
.Lfunc_end37:
	.size	_Z6kernelI9histogramILN6hipcub23BlockHistogramAlgorithmE1EEiLj320ELj2ELj320ELj100EEvPKT0_PS4_, .Lfunc_end37-_Z6kernelI9histogramILN6hipcub23BlockHistogramAlgorithmE1EEiLj320ELj2ELj320ELj100EEvPKT0_PS4_
                                        ; -- End function
	.section	.AMDGPU.csdata,"",@progbits
; Kernel info:
; codeLenInByte = 2392
; NumSgprs: 22
; NumVgprs: 39
; ScratchSize: 0
; MemoryBound: 0
; FloatMode: 240
; IeeeMode: 1
; LDSByteSize: 11568 bytes/workgroup (compile time only)
; SGPRBlocks: 2
; VGPRBlocks: 4
; NumSGPRsForWavesPerEU: 22
; NumVGPRsForWavesPerEU: 39
; Occupancy: 15
; WaveLimiterHint : 0
; COMPUTE_PGM_RSRC2:SCRATCH_EN: 0
; COMPUTE_PGM_RSRC2:USER_SGPR: 15
; COMPUTE_PGM_RSRC2:TRAP_HANDLER: 0
; COMPUTE_PGM_RSRC2:TGID_X_EN: 1
; COMPUTE_PGM_RSRC2:TGID_Y_EN: 0
; COMPUTE_PGM_RSRC2:TGID_Z_EN: 0
; COMPUTE_PGM_RSRC2:TIDIG_COMP_CNT: 2
	.section	.text._Z6kernelI9histogramILN6hipcub23BlockHistogramAlgorithmE1EEiLj320ELj3ELj320ELj100EEvPKT0_PS4_,"axG",@progbits,_Z6kernelI9histogramILN6hipcub23BlockHistogramAlgorithmE1EEiLj320ELj3ELj320ELj100EEvPKT0_PS4_,comdat
	.protected	_Z6kernelI9histogramILN6hipcub23BlockHistogramAlgorithmE1EEiLj320ELj3ELj320ELj100EEvPKT0_PS4_ ; -- Begin function _Z6kernelI9histogramILN6hipcub23BlockHistogramAlgorithmE1EEiLj320ELj3ELj320ELj100EEvPKT0_PS4_
	.globl	_Z6kernelI9histogramILN6hipcub23BlockHistogramAlgorithmE1EEiLj320ELj3ELj320ELj100EEvPKT0_PS4_
	.p2align	8
	.type	_Z6kernelI9histogramILN6hipcub23BlockHistogramAlgorithmE1EEiLj320ELj3ELj320ELj100EEvPKT0_PS4_,@function
_Z6kernelI9histogramILN6hipcub23BlockHistogramAlgorithmE1EEiLj320ELj3ELj320ELj100EEvPKT0_PS4_: ; @_Z6kernelI9histogramILN6hipcub23BlockHistogramAlgorithmE1EEiLj320ELj3ELj320ELj100EEvPKT0_PS4_
; %bb.0:
	v_and_b32_e32 v4, 0x3ff, v0
	s_mov_b32 s16, 0
	v_mov_b32_e32 v30, 0x3c0
	s_mov_b32 s17, s16
	s_delay_alu instid0(VALU_DEP_2) | instskip(SKIP_3) | instid1(VALU_DEP_1)
	v_mad_u64_u32 v[8:9], null, 0x140, s15, v[4:5]
	s_clause 0x1
	s_load_b128 s[12:15], s[0:1], 0x0
	s_load_b32 s1, s[0:1], 0x1c
	v_lshl_add_u32 v9, v8, 1, v8
	s_delay_alu instid0(VALU_DEP_1) | instskip(NEXT) | instid1(VALU_DEP_1)
	v_dual_mov_b32 v10, 0 :: v_dual_add_nc_u32 v1, 1, v9
	v_mov_b32_e32 v2, v10
	v_lshlrev_b64 v[5:6], 2, v[9:10]
	v_add_nc_u32_e32 v9, 2, v9
	s_delay_alu instid0(VALU_DEP_3) | instskip(NEXT) | instid1(VALU_DEP_2)
	v_lshlrev_b64 v[1:2], 2, v[1:2]
	v_lshlrev_b64 v[11:12], 2, v[9:10]
	s_waitcnt lgkmcnt(0)
	s_delay_alu instid0(VALU_DEP_4) | instskip(SKIP_1) | instid1(VALU_DEP_4)
	v_add_co_u32 v5, vcc_lo, s12, v5
	v_add_co_ci_u32_e32 v6, vcc_lo, s13, v6, vcc_lo
	v_add_co_u32 v13, vcc_lo, s12, v1
	v_add_co_ci_u32_e32 v14, vcc_lo, s13, v2, vcc_lo
	;; [unrolled: 2-line block ×3, first 2 shown]
	s_clause 0x2
	global_load_b32 v1, v[5:6], off
	global_load_b32 v2, v[13:14], off
	;; [unrolled: 1-line block ×3, first 2 shown]
	v_bfe_u32 v5, v0, 10, 10
	v_bfe_u32 v0, v0, 20, 10
	s_lshr_b32 s2, s1, 16
	v_mbcnt_lo_u32_b32 v11, -1, 0
	s_and_b32 s1, s1, 0xffff
	s_mov_b32 s12, s16
	v_mad_u32_u24 v0, v0, s2, v5
	s_mov_b32 s13, s16
	v_add_nc_u32_e32 v13, -1, v11
	v_cmp_eq_u32_e64 s9, 0, v11
	s_delay_alu instid0(VALU_DEP_3) | instskip(NEXT) | instid1(VALU_DEP_3)
	v_mad_u64_u32 v[5:6], null, v0, s1, v[4:5]
	v_cmp_gt_i32_e32 vcc_lo, 0, v13
	v_and_b32_e32 v6, 15, v11
	s_delay_alu instid0(VALU_DEP_3) | instskip(SKIP_1) | instid1(VALU_DEP_1)
	v_lshrrev_b32_e32 v18, 5, v5
	v_and_b32_e32 v5, 16, v11
	v_cmp_eq_u32_e64 s5, 0, v5
	v_dual_cndmask_b32 v5, v13, v11 :: v_dual_mov_b32 v14, s13
	v_lshrrev_b32_e32 v7, 5, v4
	v_mov_b32_e32 v13, s12
	v_cmp_gt_u32_e64 s0, 0x140, v4
	v_cmp_gt_u32_e64 s7, 10, v4
	v_cmp_lt_u32_e64 s8, 31, v4
	v_mul_u32_u24_e32 v9, 0x60, v7
	v_lshlrev_b32_e32 v21, 2, v7
	v_lshlrev_b32_e32 v20, 2, v5
	v_cmp_eq_u32_e64 s10, 0, v4
	v_cmp_ne_u32_e64 s11, 0, v4
	v_lshlrev_b32_e32 v12, 2, v9
	v_or_b32_e32 v0, v11, v9
	v_lshlrev_b32_e32 v9, 5, v4
	v_add_nc_u32_e32 v23, -4, v21
	v_mul_u32_u24_e32 v25, 3, v4
	v_mad_u32_u24 v15, v11, 12, v12
	v_and_b32_e32 v12, 0x1e0, v4
	v_lshlrev_b32_e32 v16, 2, v0
	v_mad_u32_u24 v27, v4, 3, 1
	v_mad_u32_u24 v28, v4, 3, 2
	v_lshl_add_u32 v19, v4, 2, 0x2830
	v_min_u32_e32 v0, 0x120, v12
	s_delay_alu instid0(VALU_DEP_1) | instskip(NEXT) | instid1(VALU_DEP_1)
	v_or_b32_e32 v0, 31, v0
	v_cmp_eq_u32_e64 s6, v0, v4
	v_mul_u32_u24_e32 v0, 3, v12
	s_delay_alu instid0(VALU_DEP_1)
	v_or_b32_e32 v0, v11, v0
	v_dual_mov_b32 v11, s16 :: v_dual_mov_b32 v12, s17
	v_mad_i32_i24 v22, 0xffffffe4, v4, v9
	v_add_nc_u32_e32 v17, 40, v9
	v_cmp_eq_u32_e64 s1, 0, v6
	v_cmp_lt_u32_e64 s2, 1, v6
	v_cmp_lt_u32_e64 s3, 3, v6
	;; [unrolled: 1-line block ×3, first 2 shown]
	v_lshlrev_b32_e32 v24, 2, v0
	v_lshl_add_u32 v26, v4, 3, v22
	v_add_nc_u32_e32 v29, -4, v22
	s_branch .LBB38_2
.LBB38_1:                               ;   in Loop: Header=BB38_2 Depth=1
	s_or_b32 exec_lo, exec_lo, s12
	s_add_i32 s16, s16, 1
	s_delay_alu instid0(SALU_CYCLE_1)
	s_cmpk_lg_i32 s16, 0x64
	s_cbranch_scc0 .LBB38_33
.LBB38_2:                               ; =>This Loop Header: Depth=1
                                        ;     Child Loop BB38_6 Depth 2
	s_and_saveexec_b32 s12, s0
	s_cbranch_execz .LBB38_4
; %bb.3:                                ;   in Loop: Header=BB38_2 Depth=1
	ds_store_b32 v19, v10
.LBB38_4:                               ;   in Loop: Header=BB38_2 Depth=1
	s_or_b32 exec_lo, exec_lo, s12
	s_waitcnt vmcnt(2)
	v_xor_b32_e32 v0, 0x80000000, v1
	s_waitcnt vmcnt(1)
	v_xor_b32_e32 v1, 0x80000000, v2
	;; [unrolled: 2-line block ×3, first 2 shown]
	s_waitcnt lgkmcnt(0)
	s_barrier
	buffer_gl0_inv
	ds_store_2addr_b32 v15, v0, v1 offset1:1
	ds_store_b32 v15, v2 offset:8
	; wave barrier
	ds_load_2addr_b32 v[0:1], v16 offset1:32
	ds_load_b32 v2, v16 offset:256
	s_mov_b32 s13, 0
	s_waitcnt lgkmcnt(0)
	s_barrier
	buffer_gl0_inv
	; wave barrier
	s_barrier
	s_branch .LBB38_6
.LBB38_5:                               ;   in Loop: Header=BB38_6 Depth=2
	v_lshlrev_b32_e32 v0, 2, v5
	v_lshlrev_b32_e32 v1, 2, v4
	s_delay_alu instid0(VALU_DEP_3)
	v_lshlrev_b32_e32 v2, 2, v3
	s_barrier
	buffer_gl0_inv
	ds_store_b32 v0, v31
	ds_store_b32 v1, v33
	;; [unrolled: 1-line block ×3, first 2 shown]
	s_waitcnt lgkmcnt(0)
	s_barrier
	buffer_gl0_inv
	ds_load_2addr_b32 v[0:1], v24 offset1:32
	ds_load_b32 v2, v24 offset:256
	s_add_i32 s13, s13, 8
	s_waitcnt lgkmcnt(0)
	s_barrier
	s_cbranch_execz .LBB38_20
.LBB38_6:                               ;   Parent Loop BB38_2 Depth=1
                                        ; =>  This Inner Loop Header: Depth=2
	v_mov_b32_e32 v31, v0
	buffer_gl0_inv
	ds_store_2addr_b64 v9, v[11:12], v[13:14] offset0:5 offset1:6
	ds_store_2addr_b64 v17, v[11:12], v[13:14] offset0:2 offset1:3
	s_waitcnt lgkmcnt(0)
	s_barrier
	v_lshrrev_b32_e32 v3, s13, v31
	buffer_gl0_inv
	; wave barrier
	v_lshlrev_b32_e32 v6, 29, v3
	v_bfe_u32 v0, v31, s13, 1
	v_lshlrev_b32_e32 v5, 30, v3
	v_lshlrev_b32_e32 v7, 28, v3
	;; [unrolled: 1-line block ×4, first 2 shown]
	v_add_co_u32 v0, s12, v0, -1
	s_delay_alu instid0(VALU_DEP_1) | instskip(SKIP_3) | instid1(VALU_DEP_4)
	v_cndmask_b32_e64 v4, 0, 1, s12
	v_cmp_gt_i32_e64 s12, 0, v5
	v_lshlrev_b32_e32 v34, 25, v3
	v_lshlrev_b32_e32 v3, 24, v3
	v_cmp_ne_u32_e32 vcc_lo, 0, v4
	v_not_b32_e32 v4, v5
	v_not_b32_e32 v5, v6
	v_xor_b32_e32 v0, vcc_lo, v0
	s_delay_alu instid0(VALU_DEP_3)
	v_ashrrev_i32_e32 v4, 31, v4
	v_cmp_gt_i32_e32 vcc_lo, 0, v6
	v_not_b32_e32 v6, v7
	v_ashrrev_i32_e32 v5, 31, v5
	v_and_b32_e32 v0, exec_lo, v0
	v_xor_b32_e32 v4, s12, v4
	v_cmp_gt_i32_e64 s12, 0, v7
	v_ashrrev_i32_e32 v6, 31, v6
	v_xor_b32_e32 v5, vcc_lo, v5
	s_delay_alu instid0(VALU_DEP_4) | instskip(SKIP_1) | instid1(VALU_DEP_4)
	v_and_b32_e32 v0, v0, v4
	v_not_b32_e32 v4, v33
	v_xor_b32_e32 v6, s12, v6
	v_cmp_gt_i32_e64 s12, 0, v33
	v_mov_b32_e32 v33, v1
	v_not_b32_e32 v7, v32
	v_cmp_gt_i32_e32 vcc_lo, 0, v32
	v_and_b32_e32 v0, v0, v5
	v_not_b32_e32 v5, v34
	v_ashrrev_i32_e32 v4, 31, v4
	v_ashrrev_i32_e32 v7, 31, v7
	v_bfe_u32 v1, v31, s13, 8
	v_and_b32_e32 v0, v0, v6
	v_not_b32_e32 v6, v3
	v_ashrrev_i32_e32 v5, 31, v5
	v_xor_b32_e32 v7, vcc_lo, v7
	v_cmp_gt_i32_e32 vcc_lo, 0, v34
	v_xor_b32_e32 v4, s12, v4
	v_cmp_gt_i32_e64 s12, 0, v3
	v_ashrrev_i32_e32 v3, 31, v6
	v_and_b32_e32 v0, v0, v7
	v_xor_b32_e32 v5, vcc_lo, v5
	v_mad_u32_u24 v1, v1, 10, v18
	v_mov_b32_e32 v32, v2
	v_xor_b32_e32 v3, s12, v3
	v_and_b32_e32 v0, v0, v4
	s_delay_alu instid0(VALU_DEP_4) | instskip(NEXT) | instid1(VALU_DEP_2)
	v_lshl_add_u32 v35, v1, 2, 40
	v_and_b32_e32 v0, v0, v5
	s_delay_alu instid0(VALU_DEP_1) | instskip(NEXT) | instid1(VALU_DEP_1)
	v_and_b32_e32 v0, v0, v3
	v_mbcnt_lo_u32_b32 v34, v0, 0
	v_cmp_ne_u32_e64 s12, 0, v0
	s_delay_alu instid0(VALU_DEP_2) | instskip(NEXT) | instid1(VALU_DEP_2)
	v_cmp_eq_u32_e32 vcc_lo, 0, v34
	s_and_b32 s17, s12, vcc_lo
	s_delay_alu instid0(SALU_CYCLE_1)
	s_and_saveexec_b32 s12, s17
	s_cbranch_execz .LBB38_8
; %bb.7:                                ;   in Loop: Header=BB38_6 Depth=2
	v_bcnt_u32_b32 v0, v0, 0
	ds_store_b32 v35, v0
.LBB38_8:                               ;   in Loop: Header=BB38_6 Depth=2
	s_or_b32 exec_lo, exec_lo, s12
	v_bfe_u32 v0, v33, s13, 1
	v_lshrrev_b32_e32 v1, s13, v33
	; wave barrier
	s_delay_alu instid0(VALU_DEP_2) | instskip(NEXT) | instid1(VALU_DEP_1)
	v_add_co_u32 v0, s12, v0, -1
	v_cndmask_b32_e64 v2, 0, 1, s12
	s_delay_alu instid0(VALU_DEP_3)
	v_lshlrev_b32_e32 v3, 30, v1
	v_lshlrev_b32_e32 v4, 29, v1
	;; [unrolled: 1-line block ×4, first 2 shown]
	v_cmp_ne_u32_e32 vcc_lo, 0, v2
	v_not_b32_e32 v2, v3
	v_cmp_gt_i32_e64 s12, 0, v3
	v_not_b32_e32 v3, v4
	v_lshlrev_b32_e32 v7, 26, v1
	v_xor_b32_e32 v0, vcc_lo, v0
	v_ashrrev_i32_e32 v2, 31, v2
	v_cmp_gt_i32_e32 vcc_lo, 0, v4
	v_not_b32_e32 v4, v5
	v_ashrrev_i32_e32 v3, 31, v3
	v_and_b32_e32 v0, exec_lo, v0
	v_xor_b32_e32 v2, s12, v2
	v_cmp_gt_i32_e64 s12, 0, v5
	v_not_b32_e32 v5, v6
	v_ashrrev_i32_e32 v4, 31, v4
	v_xor_b32_e32 v3, vcc_lo, v3
	v_and_b32_e32 v0, v0, v2
	v_cmp_gt_i32_e32 vcc_lo, 0, v6
	v_not_b32_e32 v2, v7
	v_ashrrev_i32_e32 v5, 31, v5
	v_xor_b32_e32 v4, s12, v4
	v_and_b32_e32 v0, v0, v3
	v_lshlrev_b32_e32 v3, 25, v1
	v_cmp_gt_i32_e64 s12, 0, v7
	v_ashrrev_i32_e32 v2, 31, v2
	v_xor_b32_e32 v5, vcc_lo, v5
	v_and_b32_e32 v0, v0, v4
	v_not_b32_e32 v6, v3
	v_lshlrev_b32_e32 v1, 24, v1
	v_bfe_u32 v4, v33, s13, 8
	v_xor_b32_e32 v2, s12, v2
	v_and_b32_e32 v0, v0, v5
	v_cmp_gt_i32_e32 vcc_lo, 0, v3
	v_ashrrev_i32_e32 v3, 31, v6
	v_not_b32_e32 v5, v1
	v_mul_u32_u24_e32 v4, 10, v4
	v_and_b32_e32 v0, v0, v2
	s_delay_alu instid0(VALU_DEP_4) | instskip(SKIP_3) | instid1(VALU_DEP_4)
	v_xor_b32_e32 v2, vcc_lo, v3
	v_cmp_gt_i32_e32 vcc_lo, 0, v1
	v_ashrrev_i32_e32 v1, 31, v5
	v_add_lshl_u32 v3, v4, v18, 2
	v_and_b32_e32 v0, v0, v2
	s_delay_alu instid0(VALU_DEP_3) | instskip(SKIP_3) | instid1(VALU_DEP_1)
	v_xor_b32_e32 v1, vcc_lo, v1
	ds_load_b32 v36, v3 offset:40
	v_add_nc_u32_e32 v38, 40, v3
	; wave barrier
	v_and_b32_e32 v0, v0, v1
	v_mbcnt_lo_u32_b32 v37, v0, 0
	v_cmp_ne_u32_e64 s12, 0, v0
	s_delay_alu instid0(VALU_DEP_2) | instskip(NEXT) | instid1(VALU_DEP_2)
	v_cmp_eq_u32_e32 vcc_lo, 0, v37
	s_and_b32 s17, s12, vcc_lo
	s_delay_alu instid0(SALU_CYCLE_1)
	s_and_saveexec_b32 s12, s17
	s_cbranch_execz .LBB38_10
; %bb.9:                                ;   in Loop: Header=BB38_6 Depth=2
	s_waitcnt lgkmcnt(0)
	v_bcnt_u32_b32 v0, v0, v36
	ds_store_b32 v38, v0
.LBB38_10:                              ;   in Loop: Header=BB38_6 Depth=2
	s_or_b32 exec_lo, exec_lo, s12
	v_bfe_u32 v0, v32, s13, 1
	v_lshrrev_b32_e32 v1, s13, v32
	; wave barrier
	s_delay_alu instid0(VALU_DEP_2) | instskip(NEXT) | instid1(VALU_DEP_1)
	v_add_co_u32 v0, s12, v0, -1
	v_cndmask_b32_e64 v2, 0, 1, s12
	s_delay_alu instid0(VALU_DEP_3)
	v_lshlrev_b32_e32 v3, 30, v1
	v_lshlrev_b32_e32 v4, 29, v1
	;; [unrolled: 1-line block ×4, first 2 shown]
	v_cmp_ne_u32_e32 vcc_lo, 0, v2
	v_not_b32_e32 v2, v3
	v_cmp_gt_i32_e64 s12, 0, v3
	v_not_b32_e32 v3, v4
	v_lshlrev_b32_e32 v7, 26, v1
	v_xor_b32_e32 v0, vcc_lo, v0
	v_ashrrev_i32_e32 v2, 31, v2
	v_cmp_gt_i32_e32 vcc_lo, 0, v4
	v_not_b32_e32 v4, v5
	v_ashrrev_i32_e32 v3, 31, v3
	v_and_b32_e32 v0, exec_lo, v0
	v_xor_b32_e32 v2, s12, v2
	v_cmp_gt_i32_e64 s12, 0, v5
	v_not_b32_e32 v5, v6
	v_ashrrev_i32_e32 v4, 31, v4
	v_xor_b32_e32 v3, vcc_lo, v3
	v_and_b32_e32 v0, v0, v2
	v_cmp_gt_i32_e32 vcc_lo, 0, v6
	v_not_b32_e32 v2, v7
	v_ashrrev_i32_e32 v5, 31, v5
	v_xor_b32_e32 v4, s12, v4
	v_and_b32_e32 v0, v0, v3
	v_lshlrev_b32_e32 v3, 25, v1
	v_cmp_gt_i32_e64 s12, 0, v7
	v_ashrrev_i32_e32 v2, 31, v2
	v_xor_b32_e32 v5, vcc_lo, v5
	v_and_b32_e32 v0, v0, v4
	v_not_b32_e32 v6, v3
	v_lshlrev_b32_e32 v1, 24, v1
	v_bfe_u32 v4, v32, s13, 8
	v_xor_b32_e32 v2, s12, v2
	v_and_b32_e32 v0, v0, v5
	v_cmp_gt_i32_e32 vcc_lo, 0, v3
	v_ashrrev_i32_e32 v3, 31, v6
	v_not_b32_e32 v5, v1
	v_mul_u32_u24_e32 v4, 10, v4
	v_and_b32_e32 v0, v0, v2
	s_delay_alu instid0(VALU_DEP_4) | instskip(SKIP_3) | instid1(VALU_DEP_4)
	v_xor_b32_e32 v2, vcc_lo, v3
	v_cmp_gt_i32_e32 vcc_lo, 0, v1
	v_ashrrev_i32_e32 v1, 31, v5
	v_add_lshl_u32 v3, v4, v18, 2
	v_and_b32_e32 v0, v0, v2
	s_delay_alu instid0(VALU_DEP_3) | instskip(SKIP_3) | instid1(VALU_DEP_1)
	v_xor_b32_e32 v1, vcc_lo, v1
	ds_load_b32 v39, v3 offset:40
	v_add_nc_u32_e32 v41, 40, v3
	; wave barrier
	v_and_b32_e32 v0, v0, v1
	v_mbcnt_lo_u32_b32 v40, v0, 0
	v_cmp_ne_u32_e64 s12, 0, v0
	s_delay_alu instid0(VALU_DEP_2) | instskip(NEXT) | instid1(VALU_DEP_2)
	v_cmp_eq_u32_e32 vcc_lo, 0, v40
	s_and_b32 s17, s12, vcc_lo
	s_delay_alu instid0(SALU_CYCLE_1)
	s_and_saveexec_b32 s12, s17
	s_cbranch_execz .LBB38_12
; %bb.11:                               ;   in Loop: Header=BB38_6 Depth=2
	s_waitcnt lgkmcnt(0)
	v_bcnt_u32_b32 v0, v0, v39
	ds_store_b32 v41, v0
.LBB38_12:                              ;   in Loop: Header=BB38_6 Depth=2
	s_or_b32 exec_lo, exec_lo, s12
	; wave barrier
	s_waitcnt lgkmcnt(0)
	s_barrier
	buffer_gl0_inv
	ds_load_2addr_b64 v[4:7], v9 offset0:5 offset1:6
	ds_load_2addr_b64 v[0:3], v17 offset0:2 offset1:3
	s_waitcnt lgkmcnt(1)
	v_add_nc_u32_e32 v42, v5, v4
	s_delay_alu instid0(VALU_DEP_1) | instskip(SKIP_1) | instid1(VALU_DEP_1)
	v_add3_u32 v42, v42, v6, v7
	s_waitcnt lgkmcnt(0)
	v_add3_u32 v42, v42, v0, v1
	s_delay_alu instid0(VALU_DEP_1) | instskip(NEXT) | instid1(VALU_DEP_1)
	v_add3_u32 v3, v42, v2, v3
	v_mov_b32_dpp v42, v3 row_shr:1 row_mask:0xf bank_mask:0xf
	s_delay_alu instid0(VALU_DEP_1) | instskip(NEXT) | instid1(VALU_DEP_1)
	v_cndmask_b32_e64 v42, v42, 0, s1
	v_add_nc_u32_e32 v3, v42, v3
	s_delay_alu instid0(VALU_DEP_1) | instskip(NEXT) | instid1(VALU_DEP_1)
	v_mov_b32_dpp v42, v3 row_shr:2 row_mask:0xf bank_mask:0xf
	v_cndmask_b32_e64 v42, 0, v42, s2
	s_delay_alu instid0(VALU_DEP_1) | instskip(NEXT) | instid1(VALU_DEP_1)
	v_add_nc_u32_e32 v3, v3, v42
	v_mov_b32_dpp v42, v3 row_shr:4 row_mask:0xf bank_mask:0xf
	s_delay_alu instid0(VALU_DEP_1) | instskip(NEXT) | instid1(VALU_DEP_1)
	v_cndmask_b32_e64 v42, 0, v42, s3
	v_add_nc_u32_e32 v3, v3, v42
	s_delay_alu instid0(VALU_DEP_1) | instskip(NEXT) | instid1(VALU_DEP_1)
	v_mov_b32_dpp v42, v3 row_shr:8 row_mask:0xf bank_mask:0xf
	v_cndmask_b32_e64 v42, 0, v42, s4
	s_delay_alu instid0(VALU_DEP_1) | instskip(SKIP_3) | instid1(VALU_DEP_1)
	v_add_nc_u32_e32 v3, v3, v42
	ds_swizzle_b32 v42, v3 offset:swizzle(BROADCAST,32,15)
	s_waitcnt lgkmcnt(0)
	v_cndmask_b32_e64 v42, v42, 0, s5
	v_add_nc_u32_e32 v3, v3, v42
	s_and_saveexec_b32 s12, s6
	s_cbranch_execz .LBB38_14
; %bb.13:                               ;   in Loop: Header=BB38_6 Depth=2
	ds_store_b32 v21, v3
.LBB38_14:                              ;   in Loop: Header=BB38_6 Depth=2
	s_or_b32 exec_lo, exec_lo, s12
	s_waitcnt lgkmcnt(0)
	s_barrier
	buffer_gl0_inv
	s_and_saveexec_b32 s12, s7
	s_cbranch_execz .LBB38_16
; %bb.15:                               ;   in Loop: Header=BB38_6 Depth=2
	ds_load_b32 v42, v22
	s_waitcnt lgkmcnt(0)
	v_mov_b32_dpp v43, v42 row_shr:1 row_mask:0xf bank_mask:0xf
	s_delay_alu instid0(VALU_DEP_1) | instskip(NEXT) | instid1(VALU_DEP_1)
	v_cndmask_b32_e64 v43, v43, 0, s1
	v_add_nc_u32_e32 v42, v43, v42
	s_delay_alu instid0(VALU_DEP_1) | instskip(NEXT) | instid1(VALU_DEP_1)
	v_mov_b32_dpp v43, v42 row_shr:2 row_mask:0xf bank_mask:0xf
	v_cndmask_b32_e64 v43, 0, v43, s2
	s_delay_alu instid0(VALU_DEP_1) | instskip(NEXT) | instid1(VALU_DEP_1)
	v_add_nc_u32_e32 v42, v42, v43
	v_mov_b32_dpp v43, v42 row_shr:4 row_mask:0xf bank_mask:0xf
	s_delay_alu instid0(VALU_DEP_1) | instskip(NEXT) | instid1(VALU_DEP_1)
	v_cndmask_b32_e64 v43, 0, v43, s3
	v_add_nc_u32_e32 v42, v42, v43
	s_delay_alu instid0(VALU_DEP_1) | instskip(NEXT) | instid1(VALU_DEP_1)
	v_mov_b32_dpp v43, v42 row_shr:8 row_mask:0xf bank_mask:0xf
	v_cndmask_b32_e64 v43, 0, v43, s4
	s_delay_alu instid0(VALU_DEP_1)
	v_add_nc_u32_e32 v42, v42, v43
	ds_store_b32 v22, v42
.LBB38_16:                              ;   in Loop: Header=BB38_6 Depth=2
	s_or_b32 exec_lo, exec_lo, s12
	v_mov_b32_e32 v42, 0
	s_waitcnt lgkmcnt(0)
	s_barrier
	buffer_gl0_inv
	s_and_saveexec_b32 s12, s8
	s_cbranch_execz .LBB38_18
; %bb.17:                               ;   in Loop: Header=BB38_6 Depth=2
	ds_load_b32 v42, v23
.LBB38_18:                              ;   in Loop: Header=BB38_6 Depth=2
	s_or_b32 exec_lo, exec_lo, s12
	s_waitcnt lgkmcnt(0)
	v_add_nc_u32_e32 v3, v42, v3
	s_cmp_gt_u32 s13, 23
	ds_bpermute_b32 v3, v20, v3
	s_waitcnt lgkmcnt(0)
	v_cndmask_b32_e64 v3, v3, v42, s9
	s_delay_alu instid0(VALU_DEP_1) | instskip(NEXT) | instid1(VALU_DEP_1)
	v_cndmask_b32_e64 v3, v3, 0, s10
	v_add_nc_u32_e32 v4, v3, v4
	s_delay_alu instid0(VALU_DEP_1) | instskip(NEXT) | instid1(VALU_DEP_1)
	v_add_nc_u32_e32 v5, v4, v5
	v_add_nc_u32_e32 v6, v5, v6
	s_delay_alu instid0(VALU_DEP_1) | instskip(NEXT) | instid1(VALU_DEP_1)
	v_add_nc_u32_e32 v42, v6, v7
	;; [unrolled: 3-line block ×3, first 2 shown]
	v_add_nc_u32_e32 v1, v0, v2
	ds_store_2addr_b64 v9, v[3:4], v[5:6] offset0:5 offset1:6
	ds_store_2addr_b64 v17, v[42:43], v[0:1] offset0:2 offset1:3
	s_waitcnt lgkmcnt(0)
	s_barrier
	buffer_gl0_inv
	ds_load_b32 v0, v35
	ds_load_b32 v1, v38
	;; [unrolled: 1-line block ×3, first 2 shown]
	s_waitcnt lgkmcnt(2)
	v_add_nc_u32_e32 v5, v0, v34
	s_waitcnt lgkmcnt(1)
	v_add3_u32 v4, v37, v36, v1
	s_waitcnt lgkmcnt(0)
	v_add3_u32 v3, v40, v39, v2
	s_cbranch_scc0 .LBB38_5
; %bb.19:                               ;   in Loop: Header=BB38_2 Depth=1
                                        ; implicit-def: $vgpr2
                                        ; implicit-def: $vgpr1
                                        ; implicit-def: $sgpr13
.LBB38_20:                              ;   in Loop: Header=BB38_2 Depth=1
	v_lshlrev_b32_e32 v0, 2, v5
	v_lshlrev_b32_e32 v1, 2, v4
	s_delay_alu instid0(VALU_DEP_3)
	v_lshlrev_b32_e32 v2, 2, v3
	s_barrier
	buffer_gl0_inv
	ds_store_b32 v0, v31
	ds_store_b32 v1, v33
	;; [unrolled: 1-line block ×3, first 2 shown]
	s_waitcnt lgkmcnt(0)
	s_barrier
	buffer_gl0_inv
	ds_load_2addr_b32 v[0:1], v26 offset1:1
	ds_load_b32 v4, v26 offset:8
	s_waitcnt lgkmcnt(0)
	s_barrier
	buffer_gl0_inv
	s_and_saveexec_b32 s12, s0
	s_cbranch_execz .LBB38_22
; %bb.21:                               ;   in Loop: Header=BB38_2 Depth=1
	ds_store_2addr_stride64_b32 v22, v30, v30 offset0:10 offset1:15
.LBB38_22:                              ;   in Loop: Header=BB38_2 Depth=1
	s_or_b32 exec_lo, exec_lo, s12
	v_xor_b32_e32 v3, 0x80000000, v4
	v_xor_b32_e32 v2, 0x80000000, v1
	v_cmp_ne_u32_e32 vcc_lo, v1, v4
	s_waitcnt lgkmcnt(0)
	s_barrier
	v_mov_b32_e32 v4, v3
	buffer_gl0_inv
	ds_store_b32 v22, v3
	s_and_saveexec_b32 s12, vcc_lo
	s_cbranch_execz .LBB38_24
; %bb.23:                               ;   in Loop: Header=BB38_2 Depth=1
	v_dual_mov_b32 v4, v2 :: v_dual_lshlrev_b32 v1, 2, v3
	v_lshlrev_b32_e32 v5, 2, v2
	ds_store_b32 v1, v28 offset:2560
	ds_store_b32 v5, v28 offset:3840
.LBB38_24:                              ;   in Loop: Header=BB38_2 Depth=1
	s_or_b32 exec_lo, exec_lo, s12
	v_xor_b32_e32 v1, 0x80000000, v0
	s_mov_b32 s12, exec_lo
	s_delay_alu instid0(VALU_DEP_1)
	v_lshlrev_b32_e32 v0, 2, v1
	v_cmpx_ne_u32_e64 v1, v4
	s_cbranch_execz .LBB38_26
; %bb.25:                               ;   in Loop: Header=BB38_2 Depth=1
	v_lshlrev_b32_e32 v4, 2, v4
	ds_store_b32 v4, v27 offset:2560
	ds_store_b32 v0, v27 offset:3840
.LBB38_26:                              ;   in Loop: Header=BB38_2 Depth=1
	s_or_b32 exec_lo, exec_lo, s12
	s_waitcnt lgkmcnt(0)
	s_barrier
	buffer_gl0_inv
	s_and_saveexec_b32 s12, s11
	s_cbranch_execz .LBB38_29
; %bb.27:                               ;   in Loop: Header=BB38_2 Depth=1
	ds_load_b32 v4, v29
	s_waitcnt lgkmcnt(0)
	v_cmp_ne_u32_e32 vcc_lo, v4, v1
	s_and_b32 exec_lo, exec_lo, vcc_lo
	s_cbranch_execz .LBB38_29
; %bb.28:                               ;   in Loop: Header=BB38_2 Depth=1
	ds_store_b32 v0, v25 offset:2560
	ds_load_b32 v4, v29
	s_waitcnt lgkmcnt(0)
	v_lshlrev_b32_e32 v4, 2, v4
	ds_store_b32 v4, v25 offset:3840
.LBB38_29:                              ;   in Loop: Header=BB38_2 Depth=1
	s_or_b32 exec_lo, exec_lo, s12
	s_waitcnt lgkmcnt(0)
	s_barrier
	buffer_gl0_inv
	s_and_saveexec_b32 s12, s10
	s_cbranch_execz .LBB38_31
; %bb.30:                               ;   in Loop: Header=BB38_2 Depth=1
	ds_store_b32 v0, v10 offset:2560
.LBB38_31:                              ;   in Loop: Header=BB38_2 Depth=1
	s_or_b32 exec_lo, exec_lo, s12
	s_waitcnt lgkmcnt(0)
	s_barrier
	buffer_gl0_inv
	s_and_saveexec_b32 s12, s0
	s_cbranch_execz .LBB38_1
; %bb.32:                               ;   in Loop: Header=BB38_2 Depth=1
	ds_load_2addr_stride64_b32 v[4:5], v22 offset0:10 offset1:15
	ds_load_b32 v0, v19
	s_waitcnt lgkmcnt(1)
	v_sub_nc_u32_e32 v4, v5, v4
	s_waitcnt lgkmcnt(0)
	s_delay_alu instid0(VALU_DEP_1)
	v_add_nc_u32_e32 v0, v4, v0
	ds_store_b32 v19, v0
	s_branch .LBB38_1
.LBB38_33:
	s_and_saveexec_b32 s1, s0
	s_cbranch_execz .LBB38_35
; %bb.34:
	ds_load_b32 v2, v19
	v_mov_b32_e32 v9, 0
	s_delay_alu instid0(VALU_DEP_1) | instskip(NEXT) | instid1(VALU_DEP_1)
	v_lshlrev_b64 v[0:1], 2, v[8:9]
	v_add_co_u32 v0, vcc_lo, s14, v0
	s_delay_alu instid0(VALU_DEP_2)
	v_add_co_ci_u32_e32 v1, vcc_lo, s15, v1, vcc_lo
	s_waitcnt lgkmcnt(0)
	global_store_b32 v[0:1], v2, off
.LBB38_35:
	s_nop 0
	s_sendmsg sendmsg(MSG_DEALLOC_VGPRS)
	s_endpgm
	.section	.rodata,"a",@progbits
	.p2align	6, 0x0
	.amdhsa_kernel _Z6kernelI9histogramILN6hipcub23BlockHistogramAlgorithmE1EEiLj320ELj3ELj320ELj100EEvPKT0_PS4_
		.amdhsa_group_segment_fixed_size 11568
		.amdhsa_private_segment_fixed_size 0
		.amdhsa_kernarg_size 272
		.amdhsa_user_sgpr_count 15
		.amdhsa_user_sgpr_dispatch_ptr 0
		.amdhsa_user_sgpr_queue_ptr 0
		.amdhsa_user_sgpr_kernarg_segment_ptr 1
		.amdhsa_user_sgpr_dispatch_id 0
		.amdhsa_user_sgpr_private_segment_size 0
		.amdhsa_wavefront_size32 1
		.amdhsa_uses_dynamic_stack 0
		.amdhsa_enable_private_segment 0
		.amdhsa_system_sgpr_workgroup_id_x 1
		.amdhsa_system_sgpr_workgroup_id_y 0
		.amdhsa_system_sgpr_workgroup_id_z 0
		.amdhsa_system_sgpr_workgroup_info 0
		.amdhsa_system_vgpr_workitem_id 2
		.amdhsa_next_free_vgpr 44
		.amdhsa_next_free_sgpr 18
		.amdhsa_reserve_vcc 1
		.amdhsa_float_round_mode_32 0
		.amdhsa_float_round_mode_16_64 0
		.amdhsa_float_denorm_mode_32 3
		.amdhsa_float_denorm_mode_16_64 3
		.amdhsa_dx10_clamp 1
		.amdhsa_ieee_mode 1
		.amdhsa_fp16_overflow 0
		.amdhsa_workgroup_processor_mode 1
		.amdhsa_memory_ordered 1
		.amdhsa_forward_progress 0
		.amdhsa_shared_vgpr_count 0
		.amdhsa_exception_fp_ieee_invalid_op 0
		.amdhsa_exception_fp_denorm_src 0
		.amdhsa_exception_fp_ieee_div_zero 0
		.amdhsa_exception_fp_ieee_overflow 0
		.amdhsa_exception_fp_ieee_underflow 0
		.amdhsa_exception_fp_ieee_inexact 0
		.amdhsa_exception_int_div_zero 0
	.end_amdhsa_kernel
	.section	.text._Z6kernelI9histogramILN6hipcub23BlockHistogramAlgorithmE1EEiLj320ELj3ELj320ELj100EEvPKT0_PS4_,"axG",@progbits,_Z6kernelI9histogramILN6hipcub23BlockHistogramAlgorithmE1EEiLj320ELj3ELj320ELj100EEvPKT0_PS4_,comdat
.Lfunc_end38:
	.size	_Z6kernelI9histogramILN6hipcub23BlockHistogramAlgorithmE1EEiLj320ELj3ELj320ELj100EEvPKT0_PS4_, .Lfunc_end38-_Z6kernelI9histogramILN6hipcub23BlockHistogramAlgorithmE1EEiLj320ELj3ELj320ELj100EEvPKT0_PS4_
                                        ; -- End function
	.section	.AMDGPU.csdata,"",@progbits
; Kernel info:
; codeLenInByte = 2964
; NumSgprs: 20
; NumVgprs: 44
; ScratchSize: 0
; MemoryBound: 0
; FloatMode: 240
; IeeeMode: 1
; LDSByteSize: 11568 bytes/workgroup (compile time only)
; SGPRBlocks: 2
; VGPRBlocks: 5
; NumSGPRsForWavesPerEU: 20
; NumVGPRsForWavesPerEU: 44
; Occupancy: 15
; WaveLimiterHint : 0
; COMPUTE_PGM_RSRC2:SCRATCH_EN: 0
; COMPUTE_PGM_RSRC2:USER_SGPR: 15
; COMPUTE_PGM_RSRC2:TRAP_HANDLER: 0
; COMPUTE_PGM_RSRC2:TGID_X_EN: 1
; COMPUTE_PGM_RSRC2:TGID_Y_EN: 0
; COMPUTE_PGM_RSRC2:TGID_Z_EN: 0
; COMPUTE_PGM_RSRC2:TIDIG_COMP_CNT: 2
	.section	.text._Z6kernelI9histogramILN6hipcub23BlockHistogramAlgorithmE1EEiLj320ELj4ELj320ELj100EEvPKT0_PS4_,"axG",@progbits,_Z6kernelI9histogramILN6hipcub23BlockHistogramAlgorithmE1EEiLj320ELj4ELj320ELj100EEvPKT0_PS4_,comdat
	.protected	_Z6kernelI9histogramILN6hipcub23BlockHistogramAlgorithmE1EEiLj320ELj4ELj320ELj100EEvPKT0_PS4_ ; -- Begin function _Z6kernelI9histogramILN6hipcub23BlockHistogramAlgorithmE1EEiLj320ELj4ELj320ELj100EEvPKT0_PS4_
	.globl	_Z6kernelI9histogramILN6hipcub23BlockHistogramAlgorithmE1EEiLj320ELj4ELj320ELj100EEvPKT0_PS4_
	.p2align	8
	.type	_Z6kernelI9histogramILN6hipcub23BlockHistogramAlgorithmE1EEiLj320ELj4ELj320ELj100EEvPKT0_PS4_,@function
_Z6kernelI9histogramILN6hipcub23BlockHistogramAlgorithmE1EEiLj320ELj4ELj320ELj100EEvPKT0_PS4_: ; @_Z6kernelI9histogramILN6hipcub23BlockHistogramAlgorithmE1EEiLj320ELj4ELj320ELj100EEvPKT0_PS4_
; %bb.0:
	v_and_b32_e32 v5, 0x3ff, v0
	s_clause 0x1
	s_load_b128 s[16:19], s[0:1], 0x0
	s_load_b32 s4, s[0:1], 0x1c
	v_mbcnt_lo_u32_b32 v8, -1, 0
	v_bfe_u32 v7, v0, 10, 10
	v_mad_u64_u32 v[9:10], null, 0x140, s15, v[5:6]
	v_mov_b32_e32 v11, 0
	v_bfe_u32 v0, v0, 20, 10
	v_add_nc_u32_e32 v12, -1, v8
	v_cmp_eq_u32_e64 s12, 0, v8
	v_dual_mov_b32 v35, 0x500 :: v_dual_lshlrev_b32 v10, 2, v9
	s_delay_alu instid0(VALU_DEP_1) | instskip(SKIP_3) | instid1(VALU_DEP_1)
	v_lshlrev_b64 v[1:2], 2, v[10:11]
	s_waitcnt lgkmcnt(0)
	s_lshr_b32 s3, s4, 16
	s_and_b32 s4, s4, 0xffff
	v_add_co_u32 v1, vcc_lo, s16, v1
	s_delay_alu instid0(VALU_DEP_2)
	v_add_co_ci_u32_e32 v2, vcc_lo, s17, v2, vcc_lo
	s_mov_b32 s16, 0
	v_mad_u32_u24 v0, v0, s3, v7
	s_mov_b32 s17, s16
	global_load_b128 v[1:4], v[1:2], off
	v_and_b32_e32 v6, 3, v8
	v_cmp_gt_i32_e32 vcc_lo, 0, v12
	s_mov_b32 s20, s16
	s_mov_b32 s21, s16
	v_mov_b32_e32 v14, s20
	v_cmp_eq_u32_e64 s1, 3, v6
	v_cmp_eq_u32_e64 s2, 2, v6
	;; [unrolled: 1-line block ×3, first 2 shown]
	v_mad_u64_u32 v[6:7], null, v0, s4, v[5:6]
	v_and_b32_e32 v0, 0x1e0, v5
	v_dual_mov_b32 v15, s21 :: v_dual_and_b32 v10, 28, v8
	v_and_b32_e32 v7, 15, v8
	s_delay_alu instid0(VALU_DEP_3)
	v_min_u32_e32 v0, 0x120, v0
	v_lshrrev_b32_e32 v21, 5, v6
	v_and_b32_e32 v6, 16, v8
	v_or_b32_e32 v16, 32, v10
	v_or_b32_e32 v18, 64, v10
	;; [unrolled: 1-line block ×4, first 2 shown]
	v_cmp_eq_u32_e64 s8, 0, v6
	v_cmp_eq_u32_e64 s4, 0, v7
	v_cmp_lt_u32_e64 s5, 1, v7
	v_cmp_eq_u32_e64 s9, v0, v5
	v_cndmask_b32_e32 v0, v12, v8, vcc_lo
	v_dual_mov_b32 v12, s16 :: v_dual_lshlrev_b32 v17, 5, v5
	v_lshrrev_b32_e32 v6, 3, v5
	v_lshlrev_b32_e32 v22, 2, v5
	v_cmp_gt_u32_e64 s0, 0x140, v5
	v_cmp_lt_u32_e64 s6, 3, v7
	v_mad_i32_i24 v23, 0xffffffe4, v5, v17
	v_and_b32_e32 v25, 60, v6
	v_lshlrev_b32_e32 v24, 2, v0
	v_and_or_b32 v0, 0x780, v22, v8
	v_add_nc_u32_e32 v20, 40, v17
	v_mad_u32_u24 v27, v5, 12, v23
	v_cmp_lt_u32_e64 s7, 7, v7
	v_cmp_gt_u32_e64 s10, 10, v5
	v_cmp_lt_u32_e64 s11, 31, v5
	v_cmp_eq_u32_e64 s13, 0, v5
	v_mad_i32_i24 v30, v5, -12, v27
	v_cmp_ne_u32_e64 s14, 0, v5
	v_add_nc_u32_e32 v28, -4, v25
	v_lshlrev_b32_e32 v29, 2, v0
	v_or_b32_e32 v31, 1, v22
	v_or_b32_e32 v32, 2, v22
	;; [unrolled: 1-line block ×3, first 2 shown]
	v_add_nc_u32_e32 v26, 0x2830, v22
	v_dual_mov_b32 v13, s17 :: v_dual_add_nc_u32 v34, -4, v30
	s_branch .LBB39_2
.LBB39_1:                               ;   in Loop: Header=BB39_2 Depth=1
	s_or_b32 exec_lo, exec_lo, s15
	s_add_i32 s16, s16, 1
	s_delay_alu instid0(SALU_CYCLE_1)
	s_cmpk_lg_i32 s16, 0x64
	s_cbranch_scc0 .LBB39_37
.LBB39_2:                               ; =>This Loop Header: Depth=1
                                        ;     Child Loop BB39_6 Depth 2
	s_and_saveexec_b32 s15, s0
	s_cbranch_execz .LBB39_4
; %bb.3:                                ;   in Loop: Header=BB39_2 Depth=1
	ds_store_b32 v26, v11
.LBB39_4:                               ;   in Loop: Header=BB39_2 Depth=1
	s_or_b32 exec_lo, exec_lo, s15
	s_waitcnt vmcnt(0)
	v_xor_b32_e32 v0, 0x80000000, v1
	v_xor_b32_e32 v1, 0x80000000, v2
	;; [unrolled: 1-line block ×4, first 2 shown]
	s_mov_b32 s17, 0
	ds_bpermute_b32 v3, v10, v0
	ds_bpermute_b32 v5, v10, v1
	;; [unrolled: 1-line block ×16, first 2 shown]
	s_waitcnt lgkmcnt(0)
	s_barrier
	buffer_gl0_inv
	s_barrier
	v_cndmask_b32_e64 v3, v3, v5, s3
	v_cndmask_b32_e64 v5, v6, v7, s3
	;; [unrolled: 1-line block ×4, first 2 shown]
	s_delay_alu instid0(VALU_DEP_4) | instskip(NEXT) | instid1(VALU_DEP_4)
	v_cndmask_b32_e64 v1, v3, v37, s2
	v_cndmask_b32_e64 v3, v5, v38, s2
	s_delay_alu instid0(VALU_DEP_4) | instskip(NEXT) | instid1(VALU_DEP_4)
	v_cndmask_b32_e64 v5, v6, v39, s2
	v_cndmask_b32_e64 v6, v0, v2, s2
	;; [unrolled: 3-line block ×4, first 2 shown]
	s_branch .LBB39_6
.LBB39_5:                               ;   in Loop: Header=BB39_6 Depth=2
	v_lshlrev_b32_e32 v0, 2, v7
	v_lshlrev_b32_e32 v1, 2, v6
	;; [unrolled: 1-line block ×4, first 2 shown]
	s_barrier
	buffer_gl0_inv
	ds_store_b32 v0, v8
	ds_store_b32 v1, v38
	;; [unrolled: 1-line block ×4, first 2 shown]
	s_waitcnt lgkmcnt(0)
	s_barrier
	buffer_gl0_inv
	ds_load_2addr_b32 v[0:1], v29 offset1:32
	ds_load_2addr_b32 v[2:3], v29 offset0:64 offset1:96
	s_add_i32 s17, s17, 8
	s_waitcnt lgkmcnt(0)
	s_barrier
	s_cbranch_execz .LBB39_22
.LBB39_6:                               ;   Parent Loop BB39_2 Depth=1
                                        ; =>  This Inner Loop Header: Depth=2
	v_mov_b32_e32 v8, v0
	buffer_gl0_inv
	ds_store_2addr_b64 v17, v[12:13], v[14:15] offset0:5 offset1:6
	ds_store_2addr_b64 v20, v[12:13], v[14:15] offset0:2 offset1:3
	s_waitcnt lgkmcnt(0)
	s_barrier
	v_lshrrev_b32_e32 v4, s17, v8
	buffer_gl0_inv
	; wave barrier
	v_lshlrev_b32_e32 v7, 29, v4
	v_bfe_u32 v0, v8, s17, 1
	v_lshlrev_b32_e32 v6, 30, v4
	v_lshlrev_b32_e32 v36, 28, v4
	v_lshlrev_b32_e32 v37, 27, v4
	v_lshlrev_b32_e32 v38, 26, v4
	v_add_co_u32 v0, s15, v0, -1
	s_delay_alu instid0(VALU_DEP_1) | instskip(SKIP_3) | instid1(VALU_DEP_4)
	v_cndmask_b32_e64 v5, 0, 1, s15
	v_cmp_gt_i32_e64 s15, 0, v6
	v_lshlrev_b32_e32 v39, 25, v4
	v_lshlrev_b32_e32 v4, 24, v4
	v_cmp_ne_u32_e32 vcc_lo, 0, v5
	v_not_b32_e32 v5, v6
	v_not_b32_e32 v6, v7
	v_xor_b32_e32 v0, vcc_lo, v0
	s_delay_alu instid0(VALU_DEP_3)
	v_ashrrev_i32_e32 v5, 31, v5
	v_cmp_gt_i32_e32 vcc_lo, 0, v7
	v_not_b32_e32 v7, v36
	v_ashrrev_i32_e32 v6, 31, v6
	v_and_b32_e32 v0, exec_lo, v0
	v_xor_b32_e32 v5, s15, v5
	v_cmp_gt_i32_e64 s15, 0, v36
	v_not_b32_e32 v36, v37
	v_ashrrev_i32_e32 v7, 31, v7
	v_xor_b32_e32 v6, vcc_lo, v6
	v_and_b32_e32 v0, v0, v5
	v_cmp_gt_i32_e32 vcc_lo, 0, v37
	v_not_b32_e32 v5, v38
	v_ashrrev_i32_e32 v36, 31, v36
	v_xor_b32_e32 v7, s15, v7
	v_and_b32_e32 v0, v0, v6
	v_cmp_gt_i32_e64 s15, 0, v38
	v_mov_b32_e32 v38, v1
	v_not_b32_e32 v6, v39
	v_ashrrev_i32_e32 v5, 31, v5
	v_xor_b32_e32 v36, vcc_lo, v36
	v_and_b32_e32 v0, v0, v7
	v_cmp_gt_i32_e32 vcc_lo, 0, v39
	v_not_b32_e32 v7, v4
	v_ashrrev_i32_e32 v6, 31, v6
	v_xor_b32_e32 v5, s15, v5
	v_and_b32_e32 v0, v0, v36
	v_cmp_gt_i32_e64 s15, 0, v4
	v_ashrrev_i32_e32 v4, 31, v7
	v_xor_b32_e32 v6, vcc_lo, v6
	v_bfe_u32 v1, v8, s17, 8
	v_and_b32_e32 v0, v0, v5
	v_mov_b32_e32 v36, v3
	v_xor_b32_e32 v4, s15, v4
	v_mov_b32_e32 v37, v2
	v_mad_u32_u24 v1, v1, 10, v21
	v_and_b32_e32 v0, v0, v6
	s_delay_alu instid0(VALU_DEP_2) | instskip(NEXT) | instid1(VALU_DEP_2)
	v_lshl_add_u32 v40, v1, 2, 40
	v_and_b32_e32 v0, v0, v4
	s_delay_alu instid0(VALU_DEP_1) | instskip(SKIP_1) | instid1(VALU_DEP_2)
	v_mbcnt_lo_u32_b32 v39, v0, 0
	v_cmp_ne_u32_e64 s15, 0, v0
	v_cmp_eq_u32_e32 vcc_lo, 0, v39
	s_delay_alu instid0(VALU_DEP_2) | instskip(NEXT) | instid1(SALU_CYCLE_1)
	s_and_b32 s20, s15, vcc_lo
	s_and_saveexec_b32 s15, s20
	s_cbranch_execz .LBB39_8
; %bb.7:                                ;   in Loop: Header=BB39_6 Depth=2
	v_bcnt_u32_b32 v0, v0, 0
	ds_store_b32 v40, v0
.LBB39_8:                               ;   in Loop: Header=BB39_6 Depth=2
	s_or_b32 exec_lo, exec_lo, s15
	v_bfe_u32 v0, v38, s17, 1
	v_lshrrev_b32_e32 v1, s17, v38
	; wave barrier
	s_delay_alu instid0(VALU_DEP_2) | instskip(NEXT) | instid1(VALU_DEP_1)
	v_add_co_u32 v0, s15, v0, -1
	v_cndmask_b32_e64 v2, 0, 1, s15
	s_delay_alu instid0(VALU_DEP_3)
	v_lshlrev_b32_e32 v3, 30, v1
	v_lshlrev_b32_e32 v4, 29, v1
	;; [unrolled: 1-line block ×4, first 2 shown]
	v_cmp_ne_u32_e32 vcc_lo, 0, v2
	v_not_b32_e32 v2, v3
	v_cmp_gt_i32_e64 s15, 0, v3
	v_not_b32_e32 v3, v4
	v_lshlrev_b32_e32 v7, 26, v1
	v_xor_b32_e32 v0, vcc_lo, v0
	v_ashrrev_i32_e32 v2, 31, v2
	v_cmp_gt_i32_e32 vcc_lo, 0, v4
	v_not_b32_e32 v4, v5
	v_ashrrev_i32_e32 v3, 31, v3
	v_and_b32_e32 v0, exec_lo, v0
	v_xor_b32_e32 v2, s15, v2
	v_cmp_gt_i32_e64 s15, 0, v5
	v_not_b32_e32 v5, v6
	v_ashrrev_i32_e32 v4, 31, v4
	v_xor_b32_e32 v3, vcc_lo, v3
	v_and_b32_e32 v0, v0, v2
	v_cmp_gt_i32_e32 vcc_lo, 0, v6
	v_not_b32_e32 v2, v7
	v_ashrrev_i32_e32 v5, 31, v5
	v_xor_b32_e32 v4, s15, v4
	v_and_b32_e32 v0, v0, v3
	v_lshlrev_b32_e32 v3, 25, v1
	v_cmp_gt_i32_e64 s15, 0, v7
	v_ashrrev_i32_e32 v2, 31, v2
	v_xor_b32_e32 v5, vcc_lo, v5
	v_and_b32_e32 v0, v0, v4
	v_not_b32_e32 v6, v3
	v_lshlrev_b32_e32 v1, 24, v1
	v_bfe_u32 v4, v38, s17, 8
	v_xor_b32_e32 v2, s15, v2
	v_and_b32_e32 v0, v0, v5
	v_cmp_gt_i32_e32 vcc_lo, 0, v3
	v_ashrrev_i32_e32 v3, 31, v6
	v_not_b32_e32 v5, v1
	v_mul_u32_u24_e32 v4, 10, v4
	v_and_b32_e32 v0, v0, v2
	s_delay_alu instid0(VALU_DEP_4) | instskip(SKIP_3) | instid1(VALU_DEP_4)
	v_xor_b32_e32 v2, vcc_lo, v3
	v_cmp_gt_i32_e32 vcc_lo, 0, v1
	v_ashrrev_i32_e32 v1, 31, v5
	v_add_lshl_u32 v3, v4, v21, 2
	v_and_b32_e32 v0, v0, v2
	s_delay_alu instid0(VALU_DEP_3) | instskip(SKIP_3) | instid1(VALU_DEP_1)
	v_xor_b32_e32 v1, vcc_lo, v1
	ds_load_b32 v41, v3 offset:40
	v_add_nc_u32_e32 v43, 40, v3
	; wave barrier
	v_and_b32_e32 v0, v0, v1
	v_mbcnt_lo_u32_b32 v42, v0, 0
	v_cmp_ne_u32_e64 s15, 0, v0
	s_delay_alu instid0(VALU_DEP_2) | instskip(NEXT) | instid1(VALU_DEP_2)
	v_cmp_eq_u32_e32 vcc_lo, 0, v42
	s_and_b32 s20, s15, vcc_lo
	s_delay_alu instid0(SALU_CYCLE_1)
	s_and_saveexec_b32 s15, s20
	s_cbranch_execz .LBB39_10
; %bb.9:                                ;   in Loop: Header=BB39_6 Depth=2
	s_waitcnt lgkmcnt(0)
	v_bcnt_u32_b32 v0, v0, v41
	ds_store_b32 v43, v0
.LBB39_10:                              ;   in Loop: Header=BB39_6 Depth=2
	s_or_b32 exec_lo, exec_lo, s15
	v_bfe_u32 v0, v37, s17, 1
	v_lshrrev_b32_e32 v1, s17, v37
	; wave barrier
	s_delay_alu instid0(VALU_DEP_2) | instskip(NEXT) | instid1(VALU_DEP_1)
	v_add_co_u32 v0, s15, v0, -1
	v_cndmask_b32_e64 v2, 0, 1, s15
	s_delay_alu instid0(VALU_DEP_3)
	v_lshlrev_b32_e32 v3, 30, v1
	v_lshlrev_b32_e32 v4, 29, v1
	v_lshlrev_b32_e32 v5, 28, v1
	v_lshlrev_b32_e32 v6, 27, v1
	v_cmp_ne_u32_e32 vcc_lo, 0, v2
	v_not_b32_e32 v2, v3
	v_cmp_gt_i32_e64 s15, 0, v3
	v_not_b32_e32 v3, v4
	v_lshlrev_b32_e32 v7, 26, v1
	v_xor_b32_e32 v0, vcc_lo, v0
	v_ashrrev_i32_e32 v2, 31, v2
	v_cmp_gt_i32_e32 vcc_lo, 0, v4
	v_not_b32_e32 v4, v5
	v_ashrrev_i32_e32 v3, 31, v3
	v_and_b32_e32 v0, exec_lo, v0
	v_xor_b32_e32 v2, s15, v2
	v_cmp_gt_i32_e64 s15, 0, v5
	v_not_b32_e32 v5, v6
	v_ashrrev_i32_e32 v4, 31, v4
	v_xor_b32_e32 v3, vcc_lo, v3
	v_and_b32_e32 v0, v0, v2
	v_cmp_gt_i32_e32 vcc_lo, 0, v6
	v_not_b32_e32 v2, v7
	v_ashrrev_i32_e32 v5, 31, v5
	v_xor_b32_e32 v4, s15, v4
	v_and_b32_e32 v0, v0, v3
	v_lshlrev_b32_e32 v3, 25, v1
	v_cmp_gt_i32_e64 s15, 0, v7
	v_ashrrev_i32_e32 v2, 31, v2
	v_xor_b32_e32 v5, vcc_lo, v5
	v_and_b32_e32 v0, v0, v4
	v_not_b32_e32 v6, v3
	v_lshlrev_b32_e32 v1, 24, v1
	v_bfe_u32 v4, v37, s17, 8
	v_xor_b32_e32 v2, s15, v2
	v_and_b32_e32 v0, v0, v5
	v_cmp_gt_i32_e32 vcc_lo, 0, v3
	v_ashrrev_i32_e32 v3, 31, v6
	v_not_b32_e32 v5, v1
	v_mul_u32_u24_e32 v4, 10, v4
	v_and_b32_e32 v0, v0, v2
	s_delay_alu instid0(VALU_DEP_4) | instskip(SKIP_3) | instid1(VALU_DEP_4)
	v_xor_b32_e32 v2, vcc_lo, v3
	v_cmp_gt_i32_e32 vcc_lo, 0, v1
	v_ashrrev_i32_e32 v1, 31, v5
	v_add_lshl_u32 v3, v4, v21, 2
	v_and_b32_e32 v0, v0, v2
	s_delay_alu instid0(VALU_DEP_3) | instskip(SKIP_3) | instid1(VALU_DEP_1)
	v_xor_b32_e32 v1, vcc_lo, v1
	ds_load_b32 v44, v3 offset:40
	v_add_nc_u32_e32 v46, 40, v3
	; wave barrier
	v_and_b32_e32 v0, v0, v1
	v_mbcnt_lo_u32_b32 v45, v0, 0
	v_cmp_ne_u32_e64 s15, 0, v0
	s_delay_alu instid0(VALU_DEP_2) | instskip(NEXT) | instid1(VALU_DEP_2)
	v_cmp_eq_u32_e32 vcc_lo, 0, v45
	s_and_b32 s20, s15, vcc_lo
	s_delay_alu instid0(SALU_CYCLE_1)
	s_and_saveexec_b32 s15, s20
	s_cbranch_execz .LBB39_12
; %bb.11:                               ;   in Loop: Header=BB39_6 Depth=2
	s_waitcnt lgkmcnt(0)
	v_bcnt_u32_b32 v0, v0, v44
	ds_store_b32 v46, v0
.LBB39_12:                              ;   in Loop: Header=BB39_6 Depth=2
	s_or_b32 exec_lo, exec_lo, s15
	v_bfe_u32 v0, v36, s17, 1
	v_lshrrev_b32_e32 v1, s17, v36
	; wave barrier
	s_delay_alu instid0(VALU_DEP_2) | instskip(NEXT) | instid1(VALU_DEP_1)
	v_add_co_u32 v0, s15, v0, -1
	v_cndmask_b32_e64 v2, 0, 1, s15
	s_delay_alu instid0(VALU_DEP_3)
	v_lshlrev_b32_e32 v3, 30, v1
	v_lshlrev_b32_e32 v4, 29, v1
	;; [unrolled: 1-line block ×4, first 2 shown]
	v_cmp_ne_u32_e32 vcc_lo, 0, v2
	v_not_b32_e32 v2, v3
	v_cmp_gt_i32_e64 s15, 0, v3
	v_not_b32_e32 v3, v4
	v_lshlrev_b32_e32 v7, 26, v1
	v_xor_b32_e32 v0, vcc_lo, v0
	v_ashrrev_i32_e32 v2, 31, v2
	v_cmp_gt_i32_e32 vcc_lo, 0, v4
	v_not_b32_e32 v4, v5
	v_ashrrev_i32_e32 v3, 31, v3
	v_and_b32_e32 v0, exec_lo, v0
	v_xor_b32_e32 v2, s15, v2
	v_cmp_gt_i32_e64 s15, 0, v5
	v_not_b32_e32 v5, v6
	v_ashrrev_i32_e32 v4, 31, v4
	v_xor_b32_e32 v3, vcc_lo, v3
	v_and_b32_e32 v0, v0, v2
	v_cmp_gt_i32_e32 vcc_lo, 0, v6
	v_not_b32_e32 v2, v7
	v_ashrrev_i32_e32 v5, 31, v5
	v_xor_b32_e32 v4, s15, v4
	v_and_b32_e32 v0, v0, v3
	v_lshlrev_b32_e32 v3, 25, v1
	v_cmp_gt_i32_e64 s15, 0, v7
	v_ashrrev_i32_e32 v2, 31, v2
	v_xor_b32_e32 v5, vcc_lo, v5
	v_and_b32_e32 v0, v0, v4
	v_not_b32_e32 v6, v3
	v_lshlrev_b32_e32 v1, 24, v1
	v_bfe_u32 v4, v36, s17, 8
	v_xor_b32_e32 v2, s15, v2
	v_and_b32_e32 v0, v0, v5
	v_cmp_gt_i32_e32 vcc_lo, 0, v3
	v_ashrrev_i32_e32 v3, 31, v6
	v_not_b32_e32 v5, v1
	v_mul_u32_u24_e32 v4, 10, v4
	v_and_b32_e32 v0, v0, v2
	s_delay_alu instid0(VALU_DEP_4) | instskip(SKIP_3) | instid1(VALU_DEP_4)
	v_xor_b32_e32 v2, vcc_lo, v3
	v_cmp_gt_i32_e32 vcc_lo, 0, v1
	v_ashrrev_i32_e32 v1, 31, v5
	v_add_lshl_u32 v3, v4, v21, 2
	v_and_b32_e32 v0, v0, v2
	s_delay_alu instid0(VALU_DEP_3) | instskip(SKIP_3) | instid1(VALU_DEP_1)
	v_xor_b32_e32 v1, vcc_lo, v1
	ds_load_b32 v47, v3 offset:40
	v_add_nc_u32_e32 v49, 40, v3
	; wave barrier
	v_and_b32_e32 v0, v0, v1
	v_mbcnt_lo_u32_b32 v48, v0, 0
	v_cmp_ne_u32_e64 s15, 0, v0
	s_delay_alu instid0(VALU_DEP_2) | instskip(NEXT) | instid1(VALU_DEP_2)
	v_cmp_eq_u32_e32 vcc_lo, 0, v48
	s_and_b32 s20, s15, vcc_lo
	s_delay_alu instid0(SALU_CYCLE_1)
	s_and_saveexec_b32 s15, s20
	s_cbranch_execz .LBB39_14
; %bb.13:                               ;   in Loop: Header=BB39_6 Depth=2
	s_waitcnt lgkmcnt(0)
	v_bcnt_u32_b32 v0, v0, v47
	ds_store_b32 v49, v0
.LBB39_14:                              ;   in Loop: Header=BB39_6 Depth=2
	s_or_b32 exec_lo, exec_lo, s15
	; wave barrier
	s_waitcnt lgkmcnt(0)
	s_barrier
	buffer_gl0_inv
	ds_load_2addr_b64 v[4:7], v17 offset0:5 offset1:6
	ds_load_2addr_b64 v[0:3], v20 offset0:2 offset1:3
	s_waitcnt lgkmcnt(1)
	v_add_nc_u32_e32 v50, v5, v4
	s_delay_alu instid0(VALU_DEP_1) | instskip(SKIP_1) | instid1(VALU_DEP_1)
	v_add3_u32 v50, v50, v6, v7
	s_waitcnt lgkmcnt(0)
	v_add3_u32 v50, v50, v0, v1
	s_delay_alu instid0(VALU_DEP_1) | instskip(NEXT) | instid1(VALU_DEP_1)
	v_add3_u32 v3, v50, v2, v3
	v_mov_b32_dpp v50, v3 row_shr:1 row_mask:0xf bank_mask:0xf
	s_delay_alu instid0(VALU_DEP_1) | instskip(NEXT) | instid1(VALU_DEP_1)
	v_cndmask_b32_e64 v50, v50, 0, s4
	v_add_nc_u32_e32 v3, v50, v3
	s_delay_alu instid0(VALU_DEP_1) | instskip(NEXT) | instid1(VALU_DEP_1)
	v_mov_b32_dpp v50, v3 row_shr:2 row_mask:0xf bank_mask:0xf
	v_cndmask_b32_e64 v50, 0, v50, s5
	s_delay_alu instid0(VALU_DEP_1) | instskip(NEXT) | instid1(VALU_DEP_1)
	v_add_nc_u32_e32 v3, v3, v50
	v_mov_b32_dpp v50, v3 row_shr:4 row_mask:0xf bank_mask:0xf
	s_delay_alu instid0(VALU_DEP_1) | instskip(NEXT) | instid1(VALU_DEP_1)
	v_cndmask_b32_e64 v50, 0, v50, s6
	v_add_nc_u32_e32 v3, v3, v50
	s_delay_alu instid0(VALU_DEP_1) | instskip(NEXT) | instid1(VALU_DEP_1)
	v_mov_b32_dpp v50, v3 row_shr:8 row_mask:0xf bank_mask:0xf
	v_cndmask_b32_e64 v50, 0, v50, s7
	s_delay_alu instid0(VALU_DEP_1) | instskip(SKIP_3) | instid1(VALU_DEP_1)
	v_add_nc_u32_e32 v3, v3, v50
	ds_swizzle_b32 v50, v3 offset:swizzle(BROADCAST,32,15)
	s_waitcnt lgkmcnt(0)
	v_cndmask_b32_e64 v50, v50, 0, s8
	v_add_nc_u32_e32 v3, v3, v50
	s_and_saveexec_b32 s15, s9
	s_cbranch_execz .LBB39_16
; %bb.15:                               ;   in Loop: Header=BB39_6 Depth=2
	ds_store_b32 v25, v3
.LBB39_16:                              ;   in Loop: Header=BB39_6 Depth=2
	s_or_b32 exec_lo, exec_lo, s15
	s_waitcnt lgkmcnt(0)
	s_barrier
	buffer_gl0_inv
	s_and_saveexec_b32 s15, s10
	s_cbranch_execz .LBB39_18
; %bb.17:                               ;   in Loop: Header=BB39_6 Depth=2
	ds_load_b32 v50, v23
	s_waitcnt lgkmcnt(0)
	v_mov_b32_dpp v51, v50 row_shr:1 row_mask:0xf bank_mask:0xf
	s_delay_alu instid0(VALU_DEP_1) | instskip(NEXT) | instid1(VALU_DEP_1)
	v_cndmask_b32_e64 v51, v51, 0, s4
	v_add_nc_u32_e32 v50, v51, v50
	s_delay_alu instid0(VALU_DEP_1) | instskip(NEXT) | instid1(VALU_DEP_1)
	v_mov_b32_dpp v51, v50 row_shr:2 row_mask:0xf bank_mask:0xf
	v_cndmask_b32_e64 v51, 0, v51, s5
	s_delay_alu instid0(VALU_DEP_1) | instskip(NEXT) | instid1(VALU_DEP_1)
	v_add_nc_u32_e32 v50, v50, v51
	v_mov_b32_dpp v51, v50 row_shr:4 row_mask:0xf bank_mask:0xf
	s_delay_alu instid0(VALU_DEP_1) | instskip(NEXT) | instid1(VALU_DEP_1)
	v_cndmask_b32_e64 v51, 0, v51, s6
	v_add_nc_u32_e32 v50, v50, v51
	s_delay_alu instid0(VALU_DEP_1) | instskip(NEXT) | instid1(VALU_DEP_1)
	v_mov_b32_dpp v51, v50 row_shr:8 row_mask:0xf bank_mask:0xf
	v_cndmask_b32_e64 v51, 0, v51, s7
	s_delay_alu instid0(VALU_DEP_1)
	v_add_nc_u32_e32 v50, v50, v51
	ds_store_b32 v23, v50
.LBB39_18:                              ;   in Loop: Header=BB39_6 Depth=2
	s_or_b32 exec_lo, exec_lo, s15
	v_mov_b32_e32 v50, 0
	s_waitcnt lgkmcnt(0)
	s_barrier
	buffer_gl0_inv
	s_and_saveexec_b32 s15, s11
	s_cbranch_execz .LBB39_20
; %bb.19:                               ;   in Loop: Header=BB39_6 Depth=2
	ds_load_b32 v50, v28
.LBB39_20:                              ;   in Loop: Header=BB39_6 Depth=2
	s_or_b32 exec_lo, exec_lo, s15
	s_waitcnt lgkmcnt(0)
	v_add_nc_u32_e32 v3, v50, v3
	s_cmp_gt_u32 s17, 23
	ds_bpermute_b32 v3, v24, v3
	s_waitcnt lgkmcnt(0)
	v_cndmask_b32_e64 v3, v3, v50, s12
	s_delay_alu instid0(VALU_DEP_1) | instskip(NEXT) | instid1(VALU_DEP_1)
	v_cndmask_b32_e64 v3, v3, 0, s13
	v_add_nc_u32_e32 v4, v3, v4
	s_delay_alu instid0(VALU_DEP_1) | instskip(NEXT) | instid1(VALU_DEP_1)
	v_add_nc_u32_e32 v5, v4, v5
	v_add_nc_u32_e32 v6, v5, v6
	s_delay_alu instid0(VALU_DEP_1) | instskip(NEXT) | instid1(VALU_DEP_1)
	v_add_nc_u32_e32 v50, v6, v7
	;; [unrolled: 3-line block ×3, first 2 shown]
	v_add_nc_u32_e32 v1, v0, v2
	ds_store_2addr_b64 v17, v[3:4], v[5:6] offset0:5 offset1:6
	ds_store_2addr_b64 v20, v[50:51], v[0:1] offset0:2 offset1:3
	s_waitcnt lgkmcnt(0)
	s_barrier
	buffer_gl0_inv
	ds_load_b32 v0, v40
	ds_load_b32 v1, v43
	;; [unrolled: 1-line block ×4, first 2 shown]
	s_waitcnt lgkmcnt(3)
	v_add_nc_u32_e32 v7, v0, v39
	s_waitcnt lgkmcnt(2)
	v_add3_u32 v6, v42, v41, v1
	s_waitcnt lgkmcnt(1)
	v_add3_u32 v5, v45, v44, v2
	;; [unrolled: 2-line block ×3, first 2 shown]
	s_cbranch_scc0 .LBB39_5
; %bb.21:                               ;   in Loop: Header=BB39_2 Depth=1
                                        ; implicit-def: $vgpr3
                                        ; implicit-def: $vgpr1
                                        ; implicit-def: $sgpr17
.LBB39_22:                              ;   in Loop: Header=BB39_2 Depth=1
	v_lshlrev_b32_e32 v0, 2, v7
	v_lshlrev_b32_e32 v1, 2, v6
	;; [unrolled: 1-line block ×4, first 2 shown]
	s_barrier
	buffer_gl0_inv
	ds_store_b32 v0, v8
	ds_store_b32 v1, v38
	;; [unrolled: 1-line block ×4, first 2 shown]
	s_waitcnt lgkmcnt(0)
	s_barrier
	buffer_gl0_inv
	ds_load_2addr_b64 v[5:8], v27 offset1:1
	s_waitcnt lgkmcnt(0)
	s_barrier
	buffer_gl0_inv
	s_and_saveexec_b32 s15, s0
	s_cbranch_execz .LBB39_24
; %bb.23:                               ;   in Loop: Header=BB39_2 Depth=1
	ds_store_2addr_stride64_b32 v30, v35, v35 offset0:10 offset1:15
.LBB39_24:                              ;   in Loop: Header=BB39_2 Depth=1
	s_or_b32 exec_lo, exec_lo, s15
	v_xor_b32_e32 v4, 0x80000000, v8
	v_xor_b32_e32 v3, 0x80000000, v7
	s_mov_b32 s15, exec_lo
	s_waitcnt lgkmcnt(0)
	s_barrier
	v_mov_b32_e32 v0, v4
	buffer_gl0_inv
	ds_store_b32 v23, v4
	v_cmpx_ne_u32_e64 v7, v8
	s_cbranch_execz .LBB39_26
; %bb.25:                               ;   in Loop: Header=BB39_2 Depth=1
	v_dual_mov_b32 v0, v3 :: v_dual_lshlrev_b32 v1, 2, v4
	v_lshlrev_b32_e32 v2, 2, v3
	ds_store_b32 v1, v33 offset:2560
	ds_store_b32 v2, v33 offset:3840
.LBB39_26:                              ;   in Loop: Header=BB39_2 Depth=1
	s_or_b32 exec_lo, exec_lo, s15
	v_xor_b32_e32 v2, 0x80000000, v6
	s_mov_b32 s15, exec_lo
	s_delay_alu instid0(VALU_DEP_1)
	v_lshlrev_b32_e32 v7, 2, v2
	v_cmpx_ne_u32_e64 v2, v0
	s_cbranch_execz .LBB39_28
; %bb.27:                               ;   in Loop: Header=BB39_2 Depth=1
	v_lshlrev_b32_e32 v0, 2, v0
	ds_store_b32 v0, v32 offset:2560
	ds_store_b32 v7, v32 offset:3840
.LBB39_28:                              ;   in Loop: Header=BB39_2 Depth=1
	s_or_b32 exec_lo, exec_lo, s15
	v_xor_b32_e32 v1, 0x80000000, v5
	s_mov_b32 s15, exec_lo
	s_delay_alu instid0(VALU_DEP_1)
	v_lshlrev_b32_e32 v0, 2, v1
	v_cmpx_ne_u32_e64 v5, v6
	s_cbranch_execz .LBB39_30
; %bb.29:                               ;   in Loop: Header=BB39_2 Depth=1
	ds_store_b32 v7, v31 offset:2560
	ds_store_b32 v0, v31 offset:3840
.LBB39_30:                              ;   in Loop: Header=BB39_2 Depth=1
	s_or_b32 exec_lo, exec_lo, s15
	s_waitcnt lgkmcnt(0)
	s_barrier
	buffer_gl0_inv
	s_and_saveexec_b32 s15, s14
	s_cbranch_execz .LBB39_33
; %bb.31:                               ;   in Loop: Header=BB39_2 Depth=1
	ds_load_b32 v5, v34
	s_waitcnt lgkmcnt(0)
	v_cmp_ne_u32_e32 vcc_lo, v5, v1
	s_and_b32 exec_lo, exec_lo, vcc_lo
	s_cbranch_execz .LBB39_33
; %bb.32:                               ;   in Loop: Header=BB39_2 Depth=1
	ds_store_b32 v0, v22 offset:2560
	ds_load_b32 v5, v34
	s_waitcnt lgkmcnt(0)
	v_lshlrev_b32_e32 v5, 2, v5
	ds_store_b32 v5, v22 offset:3840
.LBB39_33:                              ;   in Loop: Header=BB39_2 Depth=1
	s_or_b32 exec_lo, exec_lo, s15
	s_waitcnt lgkmcnt(0)
	s_barrier
	buffer_gl0_inv
	s_and_saveexec_b32 s15, s13
	s_cbranch_execz .LBB39_35
; %bb.34:                               ;   in Loop: Header=BB39_2 Depth=1
	ds_store_b32 v0, v11 offset:2560
.LBB39_35:                              ;   in Loop: Header=BB39_2 Depth=1
	s_or_b32 exec_lo, exec_lo, s15
	s_waitcnt lgkmcnt(0)
	s_barrier
	buffer_gl0_inv
	s_and_saveexec_b32 s15, s0
	s_cbranch_execz .LBB39_1
; %bb.36:                               ;   in Loop: Header=BB39_2 Depth=1
	ds_load_2addr_stride64_b32 v[5:6], v30 offset0:10 offset1:15
	ds_load_b32 v0, v26
	s_waitcnt lgkmcnt(1)
	v_sub_nc_u32_e32 v5, v6, v5
	s_waitcnt lgkmcnt(0)
	s_delay_alu instid0(VALU_DEP_1)
	v_add_nc_u32_e32 v0, v5, v0
	ds_store_b32 v26, v0
	s_branch .LBB39_1
.LBB39_37:
	s_and_saveexec_b32 s1, s0
	s_cbranch_execz .LBB39_39
; %bb.38:
	ds_load_b32 v2, v26
	v_mov_b32_e32 v10, 0
	s_delay_alu instid0(VALU_DEP_1) | instskip(NEXT) | instid1(VALU_DEP_1)
	v_lshlrev_b64 v[0:1], 2, v[9:10]
	v_add_co_u32 v0, vcc_lo, s18, v0
	s_delay_alu instid0(VALU_DEP_2)
	v_add_co_ci_u32_e32 v1, vcc_lo, s19, v1, vcc_lo
	s_waitcnt lgkmcnt(0)
	global_store_b32 v[0:1], v2, off
.LBB39_39:
	s_nop 0
	s_sendmsg sendmsg(MSG_DEALLOC_VGPRS)
	s_endpgm
	.section	.rodata,"a",@progbits
	.p2align	6, 0x0
	.amdhsa_kernel _Z6kernelI9histogramILN6hipcub23BlockHistogramAlgorithmE1EEiLj320ELj4ELj320ELj100EEvPKT0_PS4_
		.amdhsa_group_segment_fixed_size 11568
		.amdhsa_private_segment_fixed_size 0
		.amdhsa_kernarg_size 272
		.amdhsa_user_sgpr_count 15
		.amdhsa_user_sgpr_dispatch_ptr 0
		.amdhsa_user_sgpr_queue_ptr 0
		.amdhsa_user_sgpr_kernarg_segment_ptr 1
		.amdhsa_user_sgpr_dispatch_id 0
		.amdhsa_user_sgpr_private_segment_size 0
		.amdhsa_wavefront_size32 1
		.amdhsa_uses_dynamic_stack 0
		.amdhsa_enable_private_segment 0
		.amdhsa_system_sgpr_workgroup_id_x 1
		.amdhsa_system_sgpr_workgroup_id_y 0
		.amdhsa_system_sgpr_workgroup_id_z 0
		.amdhsa_system_sgpr_workgroup_info 0
		.amdhsa_system_vgpr_workitem_id 2
		.amdhsa_next_free_vgpr 52
		.amdhsa_next_free_sgpr 22
		.amdhsa_reserve_vcc 1
		.amdhsa_float_round_mode_32 0
		.amdhsa_float_round_mode_16_64 0
		.amdhsa_float_denorm_mode_32 3
		.amdhsa_float_denorm_mode_16_64 3
		.amdhsa_dx10_clamp 1
		.amdhsa_ieee_mode 1
		.amdhsa_fp16_overflow 0
		.amdhsa_workgroup_processor_mode 1
		.amdhsa_memory_ordered 1
		.amdhsa_forward_progress 0
		.amdhsa_shared_vgpr_count 0
		.amdhsa_exception_fp_ieee_invalid_op 0
		.amdhsa_exception_fp_denorm_src 0
		.amdhsa_exception_fp_ieee_div_zero 0
		.amdhsa_exception_fp_ieee_overflow 0
		.amdhsa_exception_fp_ieee_underflow 0
		.amdhsa_exception_fp_ieee_inexact 0
		.amdhsa_exception_int_div_zero 0
	.end_amdhsa_kernel
	.section	.text._Z6kernelI9histogramILN6hipcub23BlockHistogramAlgorithmE1EEiLj320ELj4ELj320ELj100EEvPKT0_PS4_,"axG",@progbits,_Z6kernelI9histogramILN6hipcub23BlockHistogramAlgorithmE1EEiLj320ELj4ELj320ELj100EEvPKT0_PS4_,comdat
.Lfunc_end39:
	.size	_Z6kernelI9histogramILN6hipcub23BlockHistogramAlgorithmE1EEiLj320ELj4ELj320ELj100EEvPKT0_PS4_, .Lfunc_end39-_Z6kernelI9histogramILN6hipcub23BlockHistogramAlgorithmE1EEiLj320ELj4ELj320ELj100EEvPKT0_PS4_
                                        ; -- End function
	.section	.AMDGPU.csdata,"",@progbits
; Kernel info:
; codeLenInByte = 3496
; NumSgprs: 24
; NumVgprs: 52
; ScratchSize: 0
; MemoryBound: 0
; FloatMode: 240
; IeeeMode: 1
; LDSByteSize: 11568 bytes/workgroup (compile time only)
; SGPRBlocks: 2
; VGPRBlocks: 6
; NumSGPRsForWavesPerEU: 24
; NumVGPRsForWavesPerEU: 52
; Occupancy: 15
; WaveLimiterHint : 0
; COMPUTE_PGM_RSRC2:SCRATCH_EN: 0
; COMPUTE_PGM_RSRC2:USER_SGPR: 15
; COMPUTE_PGM_RSRC2:TRAP_HANDLER: 0
; COMPUTE_PGM_RSRC2:TGID_X_EN: 1
; COMPUTE_PGM_RSRC2:TGID_Y_EN: 0
; COMPUTE_PGM_RSRC2:TGID_Z_EN: 0
; COMPUTE_PGM_RSRC2:TIDIG_COMP_CNT: 2
	.section	.text._Z6kernelI9histogramILN6hipcub23BlockHistogramAlgorithmE1EEiLj320ELj8ELj320ELj100EEvPKT0_PS4_,"axG",@progbits,_Z6kernelI9histogramILN6hipcub23BlockHistogramAlgorithmE1EEiLj320ELj8ELj320ELj100EEvPKT0_PS4_,comdat
	.protected	_Z6kernelI9histogramILN6hipcub23BlockHistogramAlgorithmE1EEiLj320ELj8ELj320ELj100EEvPKT0_PS4_ ; -- Begin function _Z6kernelI9histogramILN6hipcub23BlockHistogramAlgorithmE1EEiLj320ELj8ELj320ELj100EEvPKT0_PS4_
	.globl	_Z6kernelI9histogramILN6hipcub23BlockHistogramAlgorithmE1EEiLj320ELj8ELj320ELj100EEvPKT0_PS4_
	.p2align	8
	.type	_Z6kernelI9histogramILN6hipcub23BlockHistogramAlgorithmE1EEiLj320ELj8ELj320ELj100EEvPKT0_PS4_,@function
_Z6kernelI9histogramILN6hipcub23BlockHistogramAlgorithmE1EEiLj320ELj8ELj320ELj100EEvPKT0_PS4_: ; @_Z6kernelI9histogramILN6hipcub23BlockHistogramAlgorithmE1EEiLj320ELj8ELj320ELj100EEvPKT0_PS4_
; %bb.0:
	v_dual_mov_b32 v11, 0 :: v_dual_and_b32 v12, 0x3ff, v0
	s_load_b128 s[16:19], s[0:1], 0x0
	s_mov_b32 s14, 0
	s_load_b32 s1, s[0:1], 0x1c
	s_delay_alu instid0(VALU_DEP_1)
	v_mad_u64_u32 v[9:10], null, 0x140, s15, v[12:13]
	s_mov_b32 s15, s14
	v_mbcnt_lo_u32_b32 v15, -1, 0
	s_mov_b32 s12, s14
	s_mov_b32 s13, s14
	v_and_b32_e32 v16, 0x1e0, v12
	v_bfe_u32 v26, v0, 10, 10
	s_delay_alu instid0(VALU_DEP_4)
	v_lshlrev_b32_e32 v10, 3, v9
	v_bfe_u32 v0, v0, 20, 10
	v_lshlrev_b32_e32 v27, 5, v12
	v_or_b32_e32 v13, v15, v16
	v_cmp_gt_u32_e64 s0, 0x140, v12
	v_lshlrev_b64 v[1:2], 2, v[10:11]
	v_lshlrev_b32_e32 v10, 3, v12
	v_mad_i32_i24 v40, 0xffffffe4, v12, v27
	v_and_b32_e32 v17, 0x1fc, v13
	v_cmp_gt_u32_e64 s7, 10, v12
	v_cmp_lt_u32_e64 s8, 31, v12
	s_waitcnt lgkmcnt(0)
	v_add_co_u32 v1, vcc_lo, s16, v1
	v_add_co_ci_u32_e32 v2, vcc_lo, s17, v2, vcc_lo
	v_and_b32_e32 v14, 0xf00, v10
	v_lshl_add_u32 v18, v13, 5, v17
	s_lshr_b32 s2, s1, 16
	s_clause 0x1
	global_load_b128 v[5:8], v[1:2], off
	global_load_b128 v[1:4], v[1:2], off offset:16
	v_mad_u32_u24 v0, v0, s2, v26
	v_or_b32_e32 v19, 32, v14
	v_or_b32_e32 v17, 64, v14
	;; [unrolled: 1-line block ×3, first 2 shown]
	v_lshrrev_b32_e32 v20, 5, v14
	v_or_b32_e32 v22, 0x60, v14
	v_lshrrev_b32_e32 v21, 5, v19
	v_lshrrev_b32_e32 v17, 5, v17
	v_or_b32_e32 v23, 0x80, v14
	v_add_lshl_u32 v19, v20, v13, 2
	v_or_b32_e32 v24, 0xc0, v14
	v_add_lshl_u32 v20, v21, v13, 2
	v_add_lshl_u32 v21, v17, v13, 2
	v_or_b32_e32 v17, 0xa0, v14
	v_or_b32_e32 v14, 0xe0, v14
	v_lshrrev_b32_e32 v22, 5, v22
	v_lshrrev_b32_e32 v23, 5, v23
	;; [unrolled: 1-line block ×5, first 2 shown]
	s_and_b32 s1, s1, 0xffff
	v_add_lshl_u32 v22, v22, v13, 2
	v_add_lshl_u32 v23, v23, v13, 2
	;; [unrolled: 1-line block ×5, first 2 shown]
	v_mad_u64_u32 v[13:14], null, v0, s1, v[12:13]
	v_and_b32_e32 v0, 15, v15
	v_and_b32_e32 v14, 16, v15
	v_cmp_eq_u32_e64 s9, 0, v15
	v_cmp_eq_u32_e64 s10, 0, v12
	v_cmp_ne_u32_e64 s11, 0, v12
	v_cmp_eq_u32_e64 s1, 0, v0
	v_lshrrev_b32_e32 v36, 5, v13
	v_min_u32_e32 v13, 0x120, v16
	v_add_nc_u32_e32 v16, -1, v15
	v_cmp_lt_u32_e64 s2, 1, v0
	v_cmp_lt_u32_e64 s3, 3, v0
	;; [unrolled: 1-line block ×3, first 2 shown]
	v_or_b32_e32 v13, 31, v13
	v_cmp_gt_i32_e32 vcc_lo, 0, v16
	v_cmp_eq_u32_e64 s5, 0, v14
	v_lshl_add_u32 v37, v12, 2, 0x2940
	v_or_b32_e32 v28, 1, v10
	v_cmp_eq_u32_e64 s6, v13, v12
	v_cndmask_b32_e32 v0, v16, v15, vcc_lo
	v_lshrrev_b32_e32 v13, 3, v12
	v_mov_b32_e32 v15, s13
	v_or_b32_e32 v30, 2, v10
	v_or_b32_e32 v31, 3, v10
	v_lshlrev_b32_e32 v38, 2, v0
	v_dual_mov_b32 v44, 0xa00 :: v_dual_and_b32 v39, 60, v13
	v_and_b32_e32 v0, 0x1fc, v12
	v_dual_mov_b32 v12, s14 :: v_dual_add_nc_u32 v29, 40, v27
	v_mov_b32_e32 v14, s12
	v_or_b32_e32 v32, 4, v10
	v_or_b32_e32 v33, 5, v10
	;; [unrolled: 1-line block ×4, first 2 shown]
	v_add_nc_u32_e32 v41, -4, v39
	v_add_nc_u32_e32 v42, v27, v0
	v_add_nc_u32_e32 v43, -4, v40
	v_mov_b32_e32 v13, s15
	s_branch .LBB40_2
.LBB40_1:                               ;   in Loop: Header=BB40_2 Depth=1
	s_or_b32 exec_lo, exec_lo, s12
	s_add_i32 s14, s14, 1
	s_delay_alu instid0(SALU_CYCLE_1)
	s_cmpk_lg_i32 s14, 0x64
	s_cbranch_scc0 .LBB40_53
.LBB40_2:                               ; =>This Loop Header: Depth=1
                                        ;     Child Loop BB40_6 Depth 2
	s_and_saveexec_b32 s12, s0
	s_cbranch_execz .LBB40_4
; %bb.3:                                ;   in Loop: Header=BB40_2 Depth=1
	ds_store_b32 v37, v11
.LBB40_4:                               ;   in Loop: Header=BB40_2 Depth=1
	s_or_b32 exec_lo, exec_lo, s12
	s_waitcnt vmcnt(1)
	v_xor_b32_e32 v0, 0x80000000, v5
	v_xor_b32_e32 v5, 0x80000000, v6
	;; [unrolled: 1-line block ×4, first 2 shown]
	s_waitcnt vmcnt(0)
	v_xor_b32_e32 v1, 0x80000000, v1
	v_xor_b32_e32 v2, 0x80000000, v2
	v_xor_b32_e32 v3, 0x80000000, v3
	v_xor_b32_e32 v4, 0x80000000, v4
	s_waitcnt lgkmcnt(0)
	s_barrier
	buffer_gl0_inv
	ds_store_2addr_b32 v18, v0, v5 offset1:1
	ds_store_2addr_b32 v18, v6, v7 offset0:2 offset1:3
	ds_store_2addr_b32 v18, v1, v2 offset0:4 offset1:5
	ds_store_2addr_b32 v18, v3, v4 offset0:6 offset1:7
	; wave barrier
	ds_load_b32 v56, v19
	ds_load_b32 v0, v20 offset:128
	ds_load_b32 v1, v21 offset:256
	ds_load_b32 v2, v22 offset:384
	ds_load_b32 v3, v23 offset:512
	ds_load_b32 v4, v24 offset:640
	ds_load_b32 v52, v25 offset:768
	ds_load_b32 v53, v26 offset:896
	s_mov_b32 s13, 0
	s_waitcnt lgkmcnt(0)
	s_barrier
	buffer_gl0_inv
	; wave barrier
	s_barrier
	s_branch .LBB40_6
.LBB40_5:                               ;   in Loop: Header=BB40_6 Depth=2
	v_lshrrev_b32_e32 v0, 3, v54
	v_lshrrev_b32_e32 v1, 3, v57
	;; [unrolled: 1-line block ×4, first 2 shown]
	s_delay_alu instid0(VALU_DEP_4) | instskip(NEXT) | instid1(VALU_DEP_4)
	v_and_b32_e32 v0, 0x1ffffffc, v0
	v_and_b32_e32 v1, 0x1ffffffc, v1
	s_delay_alu instid0(VALU_DEP_4)
	v_and_b32_e32 v2, 0x1ffffffc, v2
	s_barrier
	buffer_gl0_inv
	v_lshl_add_u32 v0, v54, 2, v0
	v_lshl_add_u32 v1, v57, 2, v1
	v_lshl_add_u32 v2, v55, 2, v2
	v_lshrrev_b32_e32 v4, 3, v51
	v_and_b32_e32 v3, 0x1ffffffc, v3
	ds_store_b32 v0, v8
	ds_store_b32 v1, v49
	;; [unrolled: 1-line block ×3, first 2 shown]
	v_lshrrev_b32_e32 v0, 3, v6
	v_lshrrev_b32_e32 v1, 3, v7
	;; [unrolled: 1-line block ×3, first 2 shown]
	v_and_b32_e32 v4, 0x1ffffffc, v4
	v_lshl_add_u32 v3, v5, 2, v3
	v_and_b32_e32 v0, 0x1ffffffc, v0
	v_and_b32_e32 v1, 0x1ffffffc, v1
	v_and_b32_e32 v2, 0x1ffffffc, v2
	v_lshl_add_u32 v4, v51, 2, v4
	s_add_i32 s13, s13, 8
	v_lshl_add_u32 v0, v6, 2, v0
	v_lshl_add_u32 v1, v7, 2, v1
	;; [unrolled: 1-line block ×3, first 2 shown]
	ds_store_b32 v3, v47
	ds_store_b32 v0, v46
	;; [unrolled: 1-line block ×5, first 2 shown]
	s_waitcnt lgkmcnt(0)
	s_barrier
	buffer_gl0_inv
	ds_load_b32 v56, v19
	ds_load_b32 v0, v20 offset:128
	ds_load_b32 v1, v21 offset:256
	;; [unrolled: 1-line block ×7, first 2 shown]
	s_waitcnt lgkmcnt(0)
	s_barrier
	s_cbranch_execz .LBB40_30
.LBB40_6:                               ;   Parent Loop BB40_2 Depth=1
                                        ; =>  This Inner Loop Header: Depth=2
	v_mov_b32_e32 v8, v56
	buffer_gl0_inv
	ds_store_2addr_b64 v27, v[12:13], v[14:15] offset0:5 offset1:6
	ds_store_2addr_b64 v29, v[12:13], v[14:15] offset0:2 offset1:3
	s_waitcnt lgkmcnt(0)
	s_barrier
	v_lshrrev_b32_e32 v6, s13, v8
	buffer_gl0_inv
	; wave barrier
	v_mov_b32_e32 v49, v0
	v_lshlrev_b32_e32 v17, 29, v6
	v_bfe_u32 v5, v8, s13, 1
	v_lshlrev_b32_e32 v16, 30, v6
	v_lshlrev_b32_e32 v45, 28, v6
	;; [unrolled: 1-line block ×4, first 2 shown]
	v_add_co_u32 v5, s12, v5, -1
	s_delay_alu instid0(VALU_DEP_1)
	v_cndmask_b32_e64 v7, 0, 1, s12
	v_cmp_gt_i32_e64 s12, 0, v16
	v_lshlrev_b32_e32 v48, 25, v6
	v_lshlrev_b32_e32 v6, 24, v6
	v_bfe_u32 v0, v8, s13, 8
	v_cmp_ne_u32_e32 vcc_lo, 0, v7
	v_not_b32_e32 v7, v16
	v_not_b32_e32 v16, v17
	s_delay_alu instid0(VALU_DEP_4) | instskip(SKIP_1) | instid1(VALU_DEP_4)
	v_mad_u32_u24 v0, v0, 10, v36
	v_xor_b32_e32 v5, vcc_lo, v5
	v_ashrrev_i32_e32 v7, 31, v7
	v_cmp_gt_i32_e32 vcc_lo, 0, v17
	v_not_b32_e32 v17, v45
	v_ashrrev_i32_e32 v16, 31, v16
	v_and_b32_e32 v5, exec_lo, v5
	v_xor_b32_e32 v7, s12, v7
	v_cmp_gt_i32_e64 s12, 0, v45
	v_not_b32_e32 v45, v46
	v_ashrrev_i32_e32 v17, 31, v17
	v_xor_b32_e32 v16, vcc_lo, v16
	v_and_b32_e32 v5, v5, v7
	v_cmp_gt_i32_e32 vcc_lo, 0, v46
	v_ashrrev_i32_e32 v45, 31, v45
	v_xor_b32_e32 v17, s12, v17
	v_mov_b32_e32 v46, v3
	v_not_b32_e32 v7, v47
	v_and_b32_e32 v5, v5, v16
	v_cmp_gt_i32_e64 s12, 0, v47
	v_xor_b32_e32 v45, vcc_lo, v45
	v_mov_b32_e32 v47, v2
	v_not_b32_e32 v16, v48
	v_ashrrev_i32_e32 v7, 31, v7
	v_and_b32_e32 v5, v5, v17
	v_cmp_gt_i32_e32 vcc_lo, 0, v48
	v_mov_b32_e32 v48, v1
	v_not_b32_e32 v17, v6
	v_ashrrev_i32_e32 v16, 31, v16
	v_xor_b32_e32 v7, s12, v7
	v_and_b32_e32 v5, v5, v45
	v_cmp_gt_i32_e64 s12, 0, v6
	v_ashrrev_i32_e32 v6, 31, v17
	v_xor_b32_e32 v17, vcc_lo, v16
	v_mov_b32_e32 v16, v53
	v_and_b32_e32 v5, v5, v7
	v_mov_b32_e32 v45, v4
	v_xor_b32_e32 v6, s12, v6
	v_lshl_add_u32 v51, v0, 2, 40
	s_delay_alu instid0(VALU_DEP_4) | instskip(NEXT) | instid1(VALU_DEP_1)
	v_and_b32_e32 v5, v5, v17
	v_dual_mov_b32 v17, v52 :: v_dual_and_b32 v2, v5, v6
	s_delay_alu instid0(VALU_DEP_1) | instskip(SKIP_1) | instid1(VALU_DEP_2)
	v_mbcnt_lo_u32_b32 v50, v2, 0
	v_cmp_ne_u32_e64 s12, 0, v2
	v_cmp_eq_u32_e32 vcc_lo, 0, v50
	s_delay_alu instid0(VALU_DEP_2) | instskip(NEXT) | instid1(SALU_CYCLE_1)
	s_and_b32 s15, s12, vcc_lo
	s_and_saveexec_b32 s12, s15
	s_cbranch_execz .LBB40_8
; %bb.7:                                ;   in Loop: Header=BB40_6 Depth=2
	v_bcnt_u32_b32 v0, v2, 0
	ds_store_b32 v51, v0
.LBB40_8:                               ;   in Loop: Header=BB40_6 Depth=2
	s_or_b32 exec_lo, exec_lo, s12
	v_bfe_u32 v0, v49, s13, 1
	v_lshrrev_b32_e32 v1, s13, v49
	; wave barrier
	s_delay_alu instid0(VALU_DEP_2) | instskip(NEXT) | instid1(VALU_DEP_1)
	v_add_co_u32 v0, s12, v0, -1
	v_cndmask_b32_e64 v2, 0, 1, s12
	s_delay_alu instid0(VALU_DEP_3)
	v_lshlrev_b32_e32 v3, 30, v1
	v_lshlrev_b32_e32 v4, 29, v1
	;; [unrolled: 1-line block ×4, first 2 shown]
	v_cmp_ne_u32_e32 vcc_lo, 0, v2
	v_not_b32_e32 v2, v3
	v_cmp_gt_i32_e64 s12, 0, v3
	v_not_b32_e32 v3, v4
	v_lshlrev_b32_e32 v7, 26, v1
	v_xor_b32_e32 v0, vcc_lo, v0
	v_ashrrev_i32_e32 v2, 31, v2
	v_cmp_gt_i32_e32 vcc_lo, 0, v4
	v_not_b32_e32 v4, v5
	v_ashrrev_i32_e32 v3, 31, v3
	v_and_b32_e32 v0, exec_lo, v0
	v_xor_b32_e32 v2, s12, v2
	v_cmp_gt_i32_e64 s12, 0, v5
	v_not_b32_e32 v5, v6
	v_ashrrev_i32_e32 v4, 31, v4
	v_xor_b32_e32 v3, vcc_lo, v3
	v_and_b32_e32 v0, v0, v2
	v_cmp_gt_i32_e32 vcc_lo, 0, v6
	v_not_b32_e32 v2, v7
	v_ashrrev_i32_e32 v5, 31, v5
	v_xor_b32_e32 v4, s12, v4
	v_and_b32_e32 v0, v0, v3
	v_lshlrev_b32_e32 v3, 25, v1
	v_cmp_gt_i32_e64 s12, 0, v7
	v_ashrrev_i32_e32 v2, 31, v2
	v_xor_b32_e32 v5, vcc_lo, v5
	v_and_b32_e32 v0, v0, v4
	v_not_b32_e32 v6, v3
	v_lshlrev_b32_e32 v1, 24, v1
	v_bfe_u32 v4, v49, s13, 8
	v_xor_b32_e32 v2, s12, v2
	v_and_b32_e32 v0, v0, v5
	v_cmp_gt_i32_e32 vcc_lo, 0, v3
	v_ashrrev_i32_e32 v3, 31, v6
	v_not_b32_e32 v5, v1
	v_mul_u32_u24_e32 v4, 10, v4
	v_and_b32_e32 v0, v0, v2
	s_delay_alu instid0(VALU_DEP_4) | instskip(SKIP_3) | instid1(VALU_DEP_4)
	v_xor_b32_e32 v2, vcc_lo, v3
	v_cmp_gt_i32_e32 vcc_lo, 0, v1
	v_ashrrev_i32_e32 v1, 31, v5
	v_add_lshl_u32 v3, v4, v36, 2
	v_and_b32_e32 v0, v0, v2
	s_delay_alu instid0(VALU_DEP_3) | instskip(SKIP_3) | instid1(VALU_DEP_1)
	v_xor_b32_e32 v1, vcc_lo, v1
	ds_load_b32 v52, v3 offset:40
	v_add_nc_u32_e32 v54, 40, v3
	; wave barrier
	v_and_b32_e32 v0, v0, v1
	v_mbcnt_lo_u32_b32 v53, v0, 0
	v_cmp_ne_u32_e64 s12, 0, v0
	s_delay_alu instid0(VALU_DEP_2) | instskip(NEXT) | instid1(VALU_DEP_2)
	v_cmp_eq_u32_e32 vcc_lo, 0, v53
	s_and_b32 s15, s12, vcc_lo
	s_delay_alu instid0(SALU_CYCLE_1)
	s_and_saveexec_b32 s12, s15
	s_cbranch_execz .LBB40_10
; %bb.9:                                ;   in Loop: Header=BB40_6 Depth=2
	s_waitcnt lgkmcnt(0)
	v_bcnt_u32_b32 v0, v0, v52
	ds_store_b32 v54, v0
.LBB40_10:                              ;   in Loop: Header=BB40_6 Depth=2
	s_or_b32 exec_lo, exec_lo, s12
	v_bfe_u32 v0, v48, s13, 1
	v_lshrrev_b32_e32 v1, s13, v48
	; wave barrier
	s_delay_alu instid0(VALU_DEP_2) | instskip(NEXT) | instid1(VALU_DEP_1)
	v_add_co_u32 v0, s12, v0, -1
	v_cndmask_b32_e64 v2, 0, 1, s12
	s_delay_alu instid0(VALU_DEP_3)
	v_lshlrev_b32_e32 v3, 30, v1
	v_lshlrev_b32_e32 v4, 29, v1
	;; [unrolled: 1-line block ×4, first 2 shown]
	v_cmp_ne_u32_e32 vcc_lo, 0, v2
	v_not_b32_e32 v2, v3
	v_cmp_gt_i32_e64 s12, 0, v3
	v_not_b32_e32 v3, v4
	v_lshlrev_b32_e32 v7, 26, v1
	v_xor_b32_e32 v0, vcc_lo, v0
	v_ashrrev_i32_e32 v2, 31, v2
	v_cmp_gt_i32_e32 vcc_lo, 0, v4
	v_not_b32_e32 v4, v5
	v_ashrrev_i32_e32 v3, 31, v3
	v_and_b32_e32 v0, exec_lo, v0
	v_xor_b32_e32 v2, s12, v2
	v_cmp_gt_i32_e64 s12, 0, v5
	v_not_b32_e32 v5, v6
	v_ashrrev_i32_e32 v4, 31, v4
	v_xor_b32_e32 v3, vcc_lo, v3
	v_and_b32_e32 v0, v0, v2
	v_cmp_gt_i32_e32 vcc_lo, 0, v6
	v_not_b32_e32 v2, v7
	v_ashrrev_i32_e32 v5, 31, v5
	v_xor_b32_e32 v4, s12, v4
	v_and_b32_e32 v0, v0, v3
	v_lshlrev_b32_e32 v3, 25, v1
	v_cmp_gt_i32_e64 s12, 0, v7
	v_ashrrev_i32_e32 v2, 31, v2
	v_xor_b32_e32 v5, vcc_lo, v5
	v_and_b32_e32 v0, v0, v4
	v_not_b32_e32 v6, v3
	v_lshlrev_b32_e32 v1, 24, v1
	v_bfe_u32 v4, v48, s13, 8
	v_xor_b32_e32 v2, s12, v2
	v_and_b32_e32 v0, v0, v5
	v_cmp_gt_i32_e32 vcc_lo, 0, v3
	v_ashrrev_i32_e32 v3, 31, v6
	v_not_b32_e32 v5, v1
	v_mul_u32_u24_e32 v4, 10, v4
	v_and_b32_e32 v0, v0, v2
	s_delay_alu instid0(VALU_DEP_4) | instskip(SKIP_3) | instid1(VALU_DEP_4)
	v_xor_b32_e32 v2, vcc_lo, v3
	v_cmp_gt_i32_e32 vcc_lo, 0, v1
	v_ashrrev_i32_e32 v1, 31, v5
	v_add_lshl_u32 v3, v4, v36, 2
	v_and_b32_e32 v0, v0, v2
	s_delay_alu instid0(VALU_DEP_3) | instskip(SKIP_3) | instid1(VALU_DEP_1)
	v_xor_b32_e32 v1, vcc_lo, v1
	ds_load_b32 v55, v3 offset:40
	v_add_nc_u32_e32 v57, 40, v3
	; wave barrier
	v_and_b32_e32 v0, v0, v1
	v_mbcnt_lo_u32_b32 v56, v0, 0
	v_cmp_ne_u32_e64 s12, 0, v0
	s_delay_alu instid0(VALU_DEP_2) | instskip(NEXT) | instid1(VALU_DEP_2)
	v_cmp_eq_u32_e32 vcc_lo, 0, v56
	s_and_b32 s15, s12, vcc_lo
	s_delay_alu instid0(SALU_CYCLE_1)
	s_and_saveexec_b32 s12, s15
	s_cbranch_execz .LBB40_12
; %bb.11:                               ;   in Loop: Header=BB40_6 Depth=2
	s_waitcnt lgkmcnt(0)
	v_bcnt_u32_b32 v0, v0, v55
	ds_store_b32 v57, v0
.LBB40_12:                              ;   in Loop: Header=BB40_6 Depth=2
	s_or_b32 exec_lo, exec_lo, s12
	v_bfe_u32 v0, v47, s13, 1
	v_lshrrev_b32_e32 v1, s13, v47
	; wave barrier
	s_delay_alu instid0(VALU_DEP_2) | instskip(NEXT) | instid1(VALU_DEP_1)
	v_add_co_u32 v0, s12, v0, -1
	v_cndmask_b32_e64 v2, 0, 1, s12
	s_delay_alu instid0(VALU_DEP_3)
	v_lshlrev_b32_e32 v3, 30, v1
	v_lshlrev_b32_e32 v4, 29, v1
	;; [unrolled: 1-line block ×4, first 2 shown]
	v_cmp_ne_u32_e32 vcc_lo, 0, v2
	v_not_b32_e32 v2, v3
	v_cmp_gt_i32_e64 s12, 0, v3
	v_not_b32_e32 v3, v4
	v_lshlrev_b32_e32 v7, 26, v1
	v_xor_b32_e32 v0, vcc_lo, v0
	v_ashrrev_i32_e32 v2, 31, v2
	v_cmp_gt_i32_e32 vcc_lo, 0, v4
	v_not_b32_e32 v4, v5
	v_ashrrev_i32_e32 v3, 31, v3
	v_and_b32_e32 v0, exec_lo, v0
	v_xor_b32_e32 v2, s12, v2
	v_cmp_gt_i32_e64 s12, 0, v5
	v_not_b32_e32 v5, v6
	v_ashrrev_i32_e32 v4, 31, v4
	v_xor_b32_e32 v3, vcc_lo, v3
	v_and_b32_e32 v0, v0, v2
	v_cmp_gt_i32_e32 vcc_lo, 0, v6
	v_not_b32_e32 v2, v7
	v_ashrrev_i32_e32 v5, 31, v5
	v_xor_b32_e32 v4, s12, v4
	v_and_b32_e32 v0, v0, v3
	v_lshlrev_b32_e32 v3, 25, v1
	v_cmp_gt_i32_e64 s12, 0, v7
	v_ashrrev_i32_e32 v2, 31, v2
	v_xor_b32_e32 v5, vcc_lo, v5
	v_and_b32_e32 v0, v0, v4
	v_not_b32_e32 v6, v3
	v_lshlrev_b32_e32 v1, 24, v1
	v_bfe_u32 v4, v47, s13, 8
	v_xor_b32_e32 v2, s12, v2
	v_and_b32_e32 v0, v0, v5
	v_cmp_gt_i32_e32 vcc_lo, 0, v3
	v_ashrrev_i32_e32 v3, 31, v6
	v_not_b32_e32 v5, v1
	v_mul_u32_u24_e32 v4, 10, v4
	v_and_b32_e32 v0, v0, v2
	s_delay_alu instid0(VALU_DEP_4) | instskip(SKIP_3) | instid1(VALU_DEP_4)
	v_xor_b32_e32 v2, vcc_lo, v3
	v_cmp_gt_i32_e32 vcc_lo, 0, v1
	v_ashrrev_i32_e32 v1, 31, v5
	v_add_lshl_u32 v3, v4, v36, 2
	v_and_b32_e32 v0, v0, v2
	s_delay_alu instid0(VALU_DEP_3) | instskip(SKIP_3) | instid1(VALU_DEP_1)
	v_xor_b32_e32 v1, vcc_lo, v1
	ds_load_b32 v58, v3 offset:40
	v_add_nc_u32_e32 v60, 40, v3
	; wave barrier
	v_and_b32_e32 v0, v0, v1
	v_mbcnt_lo_u32_b32 v59, v0, 0
	v_cmp_ne_u32_e64 s12, 0, v0
	s_delay_alu instid0(VALU_DEP_2) | instskip(NEXT) | instid1(VALU_DEP_2)
	v_cmp_eq_u32_e32 vcc_lo, 0, v59
	s_and_b32 s15, s12, vcc_lo
	s_delay_alu instid0(SALU_CYCLE_1)
	s_and_saveexec_b32 s12, s15
	s_cbranch_execz .LBB40_14
; %bb.13:                               ;   in Loop: Header=BB40_6 Depth=2
	s_waitcnt lgkmcnt(0)
	v_bcnt_u32_b32 v0, v0, v58
	ds_store_b32 v60, v0
.LBB40_14:                              ;   in Loop: Header=BB40_6 Depth=2
	s_or_b32 exec_lo, exec_lo, s12
	v_bfe_u32 v0, v46, s13, 1
	v_lshrrev_b32_e32 v1, s13, v46
	; wave barrier
	s_delay_alu instid0(VALU_DEP_2) | instskip(NEXT) | instid1(VALU_DEP_1)
	v_add_co_u32 v0, s12, v0, -1
	v_cndmask_b32_e64 v2, 0, 1, s12
	s_delay_alu instid0(VALU_DEP_3)
	v_lshlrev_b32_e32 v3, 30, v1
	v_lshlrev_b32_e32 v4, 29, v1
	;; [unrolled: 1-line block ×4, first 2 shown]
	v_cmp_ne_u32_e32 vcc_lo, 0, v2
	v_not_b32_e32 v2, v3
	v_cmp_gt_i32_e64 s12, 0, v3
	v_not_b32_e32 v3, v4
	v_lshlrev_b32_e32 v7, 26, v1
	v_xor_b32_e32 v0, vcc_lo, v0
	v_ashrrev_i32_e32 v2, 31, v2
	v_cmp_gt_i32_e32 vcc_lo, 0, v4
	v_not_b32_e32 v4, v5
	v_ashrrev_i32_e32 v3, 31, v3
	v_and_b32_e32 v0, exec_lo, v0
	v_xor_b32_e32 v2, s12, v2
	v_cmp_gt_i32_e64 s12, 0, v5
	v_not_b32_e32 v5, v6
	v_ashrrev_i32_e32 v4, 31, v4
	v_xor_b32_e32 v3, vcc_lo, v3
	v_and_b32_e32 v0, v0, v2
	v_cmp_gt_i32_e32 vcc_lo, 0, v6
	v_not_b32_e32 v2, v7
	v_ashrrev_i32_e32 v5, 31, v5
	v_xor_b32_e32 v4, s12, v4
	v_and_b32_e32 v0, v0, v3
	v_lshlrev_b32_e32 v3, 25, v1
	v_cmp_gt_i32_e64 s12, 0, v7
	v_ashrrev_i32_e32 v2, 31, v2
	v_xor_b32_e32 v5, vcc_lo, v5
	v_and_b32_e32 v0, v0, v4
	v_not_b32_e32 v6, v3
	v_lshlrev_b32_e32 v1, 24, v1
	v_bfe_u32 v4, v46, s13, 8
	v_xor_b32_e32 v2, s12, v2
	v_and_b32_e32 v0, v0, v5
	v_cmp_gt_i32_e32 vcc_lo, 0, v3
	v_ashrrev_i32_e32 v3, 31, v6
	v_not_b32_e32 v5, v1
	v_mul_u32_u24_e32 v4, 10, v4
	v_and_b32_e32 v0, v0, v2
	s_delay_alu instid0(VALU_DEP_4) | instskip(SKIP_3) | instid1(VALU_DEP_4)
	v_xor_b32_e32 v2, vcc_lo, v3
	v_cmp_gt_i32_e32 vcc_lo, 0, v1
	v_ashrrev_i32_e32 v1, 31, v5
	v_add_lshl_u32 v3, v4, v36, 2
	v_and_b32_e32 v0, v0, v2
	s_delay_alu instid0(VALU_DEP_3) | instskip(SKIP_3) | instid1(VALU_DEP_1)
	v_xor_b32_e32 v1, vcc_lo, v1
	ds_load_b32 v61, v3 offset:40
	v_add_nc_u32_e32 v63, 40, v3
	; wave barrier
	v_and_b32_e32 v0, v0, v1
	v_mbcnt_lo_u32_b32 v62, v0, 0
	v_cmp_ne_u32_e64 s12, 0, v0
	s_delay_alu instid0(VALU_DEP_2) | instskip(NEXT) | instid1(VALU_DEP_2)
	v_cmp_eq_u32_e32 vcc_lo, 0, v62
	s_and_b32 s15, s12, vcc_lo
	s_delay_alu instid0(SALU_CYCLE_1)
	s_and_saveexec_b32 s12, s15
	s_cbranch_execz .LBB40_16
; %bb.15:                               ;   in Loop: Header=BB40_6 Depth=2
	s_waitcnt lgkmcnt(0)
	v_bcnt_u32_b32 v0, v0, v61
	ds_store_b32 v63, v0
.LBB40_16:                              ;   in Loop: Header=BB40_6 Depth=2
	s_or_b32 exec_lo, exec_lo, s12
	v_bfe_u32 v0, v45, s13, 1
	v_lshrrev_b32_e32 v1, s13, v45
	; wave barrier
	s_delay_alu instid0(VALU_DEP_2) | instskip(NEXT) | instid1(VALU_DEP_1)
	v_add_co_u32 v0, s12, v0, -1
	v_cndmask_b32_e64 v2, 0, 1, s12
	s_delay_alu instid0(VALU_DEP_3)
	v_lshlrev_b32_e32 v3, 30, v1
	v_lshlrev_b32_e32 v4, 29, v1
	;; [unrolled: 1-line block ×4, first 2 shown]
	v_cmp_ne_u32_e32 vcc_lo, 0, v2
	v_not_b32_e32 v2, v3
	v_cmp_gt_i32_e64 s12, 0, v3
	v_not_b32_e32 v3, v4
	v_lshlrev_b32_e32 v7, 26, v1
	v_xor_b32_e32 v0, vcc_lo, v0
	v_ashrrev_i32_e32 v2, 31, v2
	v_cmp_gt_i32_e32 vcc_lo, 0, v4
	v_not_b32_e32 v4, v5
	v_ashrrev_i32_e32 v3, 31, v3
	v_and_b32_e32 v0, exec_lo, v0
	v_xor_b32_e32 v2, s12, v2
	v_cmp_gt_i32_e64 s12, 0, v5
	v_not_b32_e32 v5, v6
	v_ashrrev_i32_e32 v4, 31, v4
	v_xor_b32_e32 v3, vcc_lo, v3
	v_and_b32_e32 v0, v0, v2
	v_cmp_gt_i32_e32 vcc_lo, 0, v6
	v_not_b32_e32 v2, v7
	v_ashrrev_i32_e32 v5, 31, v5
	v_xor_b32_e32 v4, s12, v4
	v_and_b32_e32 v0, v0, v3
	v_lshlrev_b32_e32 v3, 25, v1
	v_cmp_gt_i32_e64 s12, 0, v7
	v_ashrrev_i32_e32 v2, 31, v2
	v_xor_b32_e32 v5, vcc_lo, v5
	v_and_b32_e32 v0, v0, v4
	v_not_b32_e32 v6, v3
	v_lshlrev_b32_e32 v1, 24, v1
	v_bfe_u32 v4, v45, s13, 8
	v_xor_b32_e32 v2, s12, v2
	v_and_b32_e32 v0, v0, v5
	v_cmp_gt_i32_e32 vcc_lo, 0, v3
	v_ashrrev_i32_e32 v3, 31, v6
	v_not_b32_e32 v5, v1
	v_mul_u32_u24_e32 v4, 10, v4
	v_and_b32_e32 v0, v0, v2
	s_delay_alu instid0(VALU_DEP_4) | instskip(SKIP_3) | instid1(VALU_DEP_4)
	v_xor_b32_e32 v2, vcc_lo, v3
	v_cmp_gt_i32_e32 vcc_lo, 0, v1
	v_ashrrev_i32_e32 v1, 31, v5
	v_add_lshl_u32 v3, v4, v36, 2
	v_and_b32_e32 v0, v0, v2
	s_delay_alu instid0(VALU_DEP_3) | instskip(SKIP_3) | instid1(VALU_DEP_1)
	v_xor_b32_e32 v1, vcc_lo, v1
	ds_load_b32 v64, v3 offset:40
	v_add_nc_u32_e32 v66, 40, v3
	; wave barrier
	v_and_b32_e32 v0, v0, v1
	v_mbcnt_lo_u32_b32 v65, v0, 0
	v_cmp_ne_u32_e64 s12, 0, v0
	s_delay_alu instid0(VALU_DEP_2) | instskip(NEXT) | instid1(VALU_DEP_2)
	v_cmp_eq_u32_e32 vcc_lo, 0, v65
	s_and_b32 s15, s12, vcc_lo
	s_delay_alu instid0(SALU_CYCLE_1)
	s_and_saveexec_b32 s12, s15
	s_cbranch_execz .LBB40_18
; %bb.17:                               ;   in Loop: Header=BB40_6 Depth=2
	s_waitcnt lgkmcnt(0)
	v_bcnt_u32_b32 v0, v0, v64
	ds_store_b32 v66, v0
.LBB40_18:                              ;   in Loop: Header=BB40_6 Depth=2
	s_or_b32 exec_lo, exec_lo, s12
	v_bfe_u32 v0, v17, s13, 1
	v_lshrrev_b32_e32 v1, s13, v17
	; wave barrier
	s_delay_alu instid0(VALU_DEP_2) | instskip(NEXT) | instid1(VALU_DEP_1)
	v_add_co_u32 v0, s12, v0, -1
	v_cndmask_b32_e64 v2, 0, 1, s12
	s_delay_alu instid0(VALU_DEP_3)
	v_lshlrev_b32_e32 v3, 30, v1
	v_lshlrev_b32_e32 v4, 29, v1
	;; [unrolled: 1-line block ×4, first 2 shown]
	v_cmp_ne_u32_e32 vcc_lo, 0, v2
	v_not_b32_e32 v2, v3
	v_cmp_gt_i32_e64 s12, 0, v3
	v_not_b32_e32 v3, v4
	v_lshlrev_b32_e32 v7, 26, v1
	v_xor_b32_e32 v0, vcc_lo, v0
	v_ashrrev_i32_e32 v2, 31, v2
	v_cmp_gt_i32_e32 vcc_lo, 0, v4
	v_not_b32_e32 v4, v5
	v_ashrrev_i32_e32 v3, 31, v3
	v_and_b32_e32 v0, exec_lo, v0
	v_xor_b32_e32 v2, s12, v2
	v_cmp_gt_i32_e64 s12, 0, v5
	v_not_b32_e32 v5, v6
	v_ashrrev_i32_e32 v4, 31, v4
	v_xor_b32_e32 v3, vcc_lo, v3
	v_and_b32_e32 v0, v0, v2
	v_cmp_gt_i32_e32 vcc_lo, 0, v6
	v_not_b32_e32 v2, v7
	v_ashrrev_i32_e32 v5, 31, v5
	v_xor_b32_e32 v4, s12, v4
	v_and_b32_e32 v0, v0, v3
	v_lshlrev_b32_e32 v3, 25, v1
	v_cmp_gt_i32_e64 s12, 0, v7
	v_ashrrev_i32_e32 v2, 31, v2
	v_xor_b32_e32 v5, vcc_lo, v5
	v_and_b32_e32 v0, v0, v4
	v_not_b32_e32 v6, v3
	v_lshlrev_b32_e32 v1, 24, v1
	v_bfe_u32 v4, v17, s13, 8
	v_xor_b32_e32 v2, s12, v2
	v_and_b32_e32 v0, v0, v5
	v_cmp_gt_i32_e32 vcc_lo, 0, v3
	v_ashrrev_i32_e32 v3, 31, v6
	v_not_b32_e32 v5, v1
	v_mul_u32_u24_e32 v4, 10, v4
	v_and_b32_e32 v0, v0, v2
	s_delay_alu instid0(VALU_DEP_4) | instskip(SKIP_3) | instid1(VALU_DEP_4)
	v_xor_b32_e32 v2, vcc_lo, v3
	v_cmp_gt_i32_e32 vcc_lo, 0, v1
	v_ashrrev_i32_e32 v1, 31, v5
	v_add_lshl_u32 v3, v4, v36, 2
	v_and_b32_e32 v0, v0, v2
	s_delay_alu instid0(VALU_DEP_3) | instskip(SKIP_3) | instid1(VALU_DEP_1)
	v_xor_b32_e32 v1, vcc_lo, v1
	ds_load_b32 v67, v3 offset:40
	v_add_nc_u32_e32 v69, 40, v3
	; wave barrier
	v_and_b32_e32 v0, v0, v1
	v_mbcnt_lo_u32_b32 v68, v0, 0
	v_cmp_ne_u32_e64 s12, 0, v0
	s_delay_alu instid0(VALU_DEP_2) | instskip(NEXT) | instid1(VALU_DEP_2)
	v_cmp_eq_u32_e32 vcc_lo, 0, v68
	s_and_b32 s15, s12, vcc_lo
	s_delay_alu instid0(SALU_CYCLE_1)
	s_and_saveexec_b32 s12, s15
	s_cbranch_execz .LBB40_20
; %bb.19:                               ;   in Loop: Header=BB40_6 Depth=2
	s_waitcnt lgkmcnt(0)
	v_bcnt_u32_b32 v0, v0, v67
	ds_store_b32 v69, v0
.LBB40_20:                              ;   in Loop: Header=BB40_6 Depth=2
	s_or_b32 exec_lo, exec_lo, s12
	v_bfe_u32 v0, v16, s13, 1
	v_lshrrev_b32_e32 v1, s13, v16
	; wave barrier
	s_delay_alu instid0(VALU_DEP_2) | instskip(NEXT) | instid1(VALU_DEP_1)
	v_add_co_u32 v0, s12, v0, -1
	v_cndmask_b32_e64 v2, 0, 1, s12
	s_delay_alu instid0(VALU_DEP_3)
	v_lshlrev_b32_e32 v3, 30, v1
	v_lshlrev_b32_e32 v4, 29, v1
	;; [unrolled: 1-line block ×4, first 2 shown]
	v_cmp_ne_u32_e32 vcc_lo, 0, v2
	v_not_b32_e32 v2, v3
	v_cmp_gt_i32_e64 s12, 0, v3
	v_not_b32_e32 v3, v4
	v_lshlrev_b32_e32 v7, 26, v1
	v_xor_b32_e32 v0, vcc_lo, v0
	v_ashrrev_i32_e32 v2, 31, v2
	v_cmp_gt_i32_e32 vcc_lo, 0, v4
	v_not_b32_e32 v4, v5
	v_ashrrev_i32_e32 v3, 31, v3
	v_and_b32_e32 v0, exec_lo, v0
	v_xor_b32_e32 v2, s12, v2
	v_cmp_gt_i32_e64 s12, 0, v5
	v_not_b32_e32 v5, v6
	v_ashrrev_i32_e32 v4, 31, v4
	v_xor_b32_e32 v3, vcc_lo, v3
	v_and_b32_e32 v0, v0, v2
	v_cmp_gt_i32_e32 vcc_lo, 0, v6
	v_not_b32_e32 v2, v7
	v_ashrrev_i32_e32 v5, 31, v5
	v_xor_b32_e32 v4, s12, v4
	v_and_b32_e32 v0, v0, v3
	v_lshlrev_b32_e32 v3, 25, v1
	v_cmp_gt_i32_e64 s12, 0, v7
	v_ashrrev_i32_e32 v2, 31, v2
	v_xor_b32_e32 v5, vcc_lo, v5
	v_and_b32_e32 v0, v0, v4
	v_not_b32_e32 v6, v3
	v_lshlrev_b32_e32 v1, 24, v1
	v_bfe_u32 v4, v16, s13, 8
	v_xor_b32_e32 v2, s12, v2
	v_and_b32_e32 v0, v0, v5
	v_cmp_gt_i32_e32 vcc_lo, 0, v3
	v_ashrrev_i32_e32 v3, 31, v6
	v_not_b32_e32 v5, v1
	v_mul_u32_u24_e32 v4, 10, v4
	v_and_b32_e32 v0, v0, v2
	s_delay_alu instid0(VALU_DEP_4) | instskip(SKIP_3) | instid1(VALU_DEP_4)
	v_xor_b32_e32 v2, vcc_lo, v3
	v_cmp_gt_i32_e32 vcc_lo, 0, v1
	v_ashrrev_i32_e32 v1, 31, v5
	v_add_lshl_u32 v3, v4, v36, 2
	v_and_b32_e32 v0, v0, v2
	s_delay_alu instid0(VALU_DEP_3) | instskip(SKIP_3) | instid1(VALU_DEP_1)
	v_xor_b32_e32 v1, vcc_lo, v1
	ds_load_b32 v70, v3 offset:40
	v_add_nc_u32_e32 v72, 40, v3
	; wave barrier
	v_and_b32_e32 v0, v0, v1
	v_mbcnt_lo_u32_b32 v71, v0, 0
	v_cmp_ne_u32_e64 s12, 0, v0
	s_delay_alu instid0(VALU_DEP_2) | instskip(NEXT) | instid1(VALU_DEP_2)
	v_cmp_eq_u32_e32 vcc_lo, 0, v71
	s_and_b32 s15, s12, vcc_lo
	s_delay_alu instid0(SALU_CYCLE_1)
	s_and_saveexec_b32 s12, s15
	s_cbranch_execz .LBB40_22
; %bb.21:                               ;   in Loop: Header=BB40_6 Depth=2
	s_waitcnt lgkmcnt(0)
	v_bcnt_u32_b32 v0, v0, v70
	ds_store_b32 v72, v0
.LBB40_22:                              ;   in Loop: Header=BB40_6 Depth=2
	s_or_b32 exec_lo, exec_lo, s12
	; wave barrier
	s_waitcnt lgkmcnt(0)
	s_barrier
	buffer_gl0_inv
	ds_load_2addr_b64 v[4:7], v27 offset0:5 offset1:6
	ds_load_2addr_b64 v[0:3], v29 offset0:2 offset1:3
	s_waitcnt lgkmcnt(1)
	v_add_nc_u32_e32 v73, v5, v4
	s_delay_alu instid0(VALU_DEP_1) | instskip(SKIP_1) | instid1(VALU_DEP_1)
	v_add3_u32 v73, v73, v6, v7
	s_waitcnt lgkmcnt(0)
	v_add3_u32 v73, v73, v0, v1
	s_delay_alu instid0(VALU_DEP_1) | instskip(NEXT) | instid1(VALU_DEP_1)
	v_add3_u32 v3, v73, v2, v3
	v_mov_b32_dpp v73, v3 row_shr:1 row_mask:0xf bank_mask:0xf
	s_delay_alu instid0(VALU_DEP_1) | instskip(NEXT) | instid1(VALU_DEP_1)
	v_cndmask_b32_e64 v73, v73, 0, s1
	v_add_nc_u32_e32 v3, v73, v3
	s_delay_alu instid0(VALU_DEP_1) | instskip(NEXT) | instid1(VALU_DEP_1)
	v_mov_b32_dpp v73, v3 row_shr:2 row_mask:0xf bank_mask:0xf
	v_cndmask_b32_e64 v73, 0, v73, s2
	s_delay_alu instid0(VALU_DEP_1) | instskip(NEXT) | instid1(VALU_DEP_1)
	v_add_nc_u32_e32 v3, v3, v73
	v_mov_b32_dpp v73, v3 row_shr:4 row_mask:0xf bank_mask:0xf
	s_delay_alu instid0(VALU_DEP_1) | instskip(NEXT) | instid1(VALU_DEP_1)
	v_cndmask_b32_e64 v73, 0, v73, s3
	v_add_nc_u32_e32 v3, v3, v73
	s_delay_alu instid0(VALU_DEP_1) | instskip(NEXT) | instid1(VALU_DEP_1)
	v_mov_b32_dpp v73, v3 row_shr:8 row_mask:0xf bank_mask:0xf
	v_cndmask_b32_e64 v73, 0, v73, s4
	s_delay_alu instid0(VALU_DEP_1) | instskip(SKIP_3) | instid1(VALU_DEP_1)
	v_add_nc_u32_e32 v3, v3, v73
	ds_swizzle_b32 v73, v3 offset:swizzle(BROADCAST,32,15)
	s_waitcnt lgkmcnt(0)
	v_cndmask_b32_e64 v73, v73, 0, s5
	v_add_nc_u32_e32 v3, v3, v73
	s_and_saveexec_b32 s12, s6
	s_cbranch_execz .LBB40_24
; %bb.23:                               ;   in Loop: Header=BB40_6 Depth=2
	ds_store_b32 v39, v3
.LBB40_24:                              ;   in Loop: Header=BB40_6 Depth=2
	s_or_b32 exec_lo, exec_lo, s12
	s_waitcnt lgkmcnt(0)
	s_barrier
	buffer_gl0_inv
	s_and_saveexec_b32 s12, s7
	s_cbranch_execz .LBB40_26
; %bb.25:                               ;   in Loop: Header=BB40_6 Depth=2
	ds_load_b32 v73, v40
	s_waitcnt lgkmcnt(0)
	v_mov_b32_dpp v74, v73 row_shr:1 row_mask:0xf bank_mask:0xf
	s_delay_alu instid0(VALU_DEP_1) | instskip(NEXT) | instid1(VALU_DEP_1)
	v_cndmask_b32_e64 v74, v74, 0, s1
	v_add_nc_u32_e32 v73, v74, v73
	s_delay_alu instid0(VALU_DEP_1) | instskip(NEXT) | instid1(VALU_DEP_1)
	v_mov_b32_dpp v74, v73 row_shr:2 row_mask:0xf bank_mask:0xf
	v_cndmask_b32_e64 v74, 0, v74, s2
	s_delay_alu instid0(VALU_DEP_1) | instskip(NEXT) | instid1(VALU_DEP_1)
	v_add_nc_u32_e32 v73, v73, v74
	v_mov_b32_dpp v74, v73 row_shr:4 row_mask:0xf bank_mask:0xf
	s_delay_alu instid0(VALU_DEP_1) | instskip(NEXT) | instid1(VALU_DEP_1)
	v_cndmask_b32_e64 v74, 0, v74, s3
	v_add_nc_u32_e32 v73, v73, v74
	s_delay_alu instid0(VALU_DEP_1) | instskip(NEXT) | instid1(VALU_DEP_1)
	v_mov_b32_dpp v74, v73 row_shr:8 row_mask:0xf bank_mask:0xf
	v_cndmask_b32_e64 v74, 0, v74, s4
	s_delay_alu instid0(VALU_DEP_1)
	v_add_nc_u32_e32 v73, v73, v74
	ds_store_b32 v40, v73
.LBB40_26:                              ;   in Loop: Header=BB40_6 Depth=2
	s_or_b32 exec_lo, exec_lo, s12
	v_mov_b32_e32 v73, 0
	s_waitcnt lgkmcnt(0)
	s_barrier
	buffer_gl0_inv
	s_and_saveexec_b32 s12, s8
	s_cbranch_execz .LBB40_28
; %bb.27:                               ;   in Loop: Header=BB40_6 Depth=2
	ds_load_b32 v73, v41
.LBB40_28:                              ;   in Loop: Header=BB40_6 Depth=2
	s_or_b32 exec_lo, exec_lo, s12
	s_waitcnt lgkmcnt(0)
	v_add_nc_u32_e32 v3, v73, v3
	s_cmp_gt_u32 s13, 23
	ds_bpermute_b32 v3, v38, v3
	s_waitcnt lgkmcnt(0)
	v_cndmask_b32_e64 v3, v3, v73, s9
	s_delay_alu instid0(VALU_DEP_1) | instskip(NEXT) | instid1(VALU_DEP_1)
	v_cndmask_b32_e64 v3, v3, 0, s10
	v_add_nc_u32_e32 v4, v3, v4
	s_delay_alu instid0(VALU_DEP_1) | instskip(NEXT) | instid1(VALU_DEP_1)
	v_add_nc_u32_e32 v5, v4, v5
	v_add_nc_u32_e32 v6, v5, v6
	s_delay_alu instid0(VALU_DEP_1) | instskip(NEXT) | instid1(VALU_DEP_1)
	v_add_nc_u32_e32 v73, v6, v7
	;; [unrolled: 3-line block ×3, first 2 shown]
	v_add_nc_u32_e32 v1, v0, v2
	ds_store_2addr_b64 v27, v[3:4], v[5:6] offset0:5 offset1:6
	ds_store_2addr_b64 v29, v[73:74], v[0:1] offset0:2 offset1:3
	s_waitcnt lgkmcnt(0)
	s_barrier
	buffer_gl0_inv
	ds_load_b32 v0, v51
	ds_load_b32 v1, v54
	;; [unrolled: 1-line block ×8, first 2 shown]
	s_waitcnt lgkmcnt(7)
	v_add_nc_u32_e32 v54, v0, v50
	s_waitcnt lgkmcnt(6)
	v_add3_u32 v57, v53, v52, v1
	s_waitcnt lgkmcnt(5)
	v_add3_u32 v55, v56, v55, v2
	s_waitcnt lgkmcnt(4)
	v_add3_u32 v5, v59, v58, v3
	s_waitcnt lgkmcnt(3)
	v_add3_u32 v6, v62, v61, v4
	s_waitcnt lgkmcnt(2)
	v_add3_u32 v7, v65, v64, v7
	s_waitcnt lgkmcnt(1)
	v_add3_u32 v50, v68, v67, v51
	s_waitcnt lgkmcnt(0)
	v_add3_u32 v51, v71, v70, v60
	s_cbranch_scc0 .LBB40_5
; %bb.29:                               ;   in Loop: Header=BB40_2 Depth=1
                                        ; implicit-def: $vgpr53
                                        ; implicit-def: $vgpr52
                                        ; implicit-def: $vgpr4
                                        ; implicit-def: $vgpr3
                                        ; implicit-def: $vgpr2
                                        ; implicit-def: $vgpr1
                                        ; implicit-def: $vgpr0
                                        ; implicit-def: $vgpr56
                                        ; implicit-def: $sgpr13
.LBB40_30:                              ;   in Loop: Header=BB40_2 Depth=1
	v_lshrrev_b32_e32 v0, 3, v54
	v_lshrrev_b32_e32 v1, 3, v57
	;; [unrolled: 1-line block ×4, first 2 shown]
	s_delay_alu instid0(VALU_DEP_4) | instskip(NEXT) | instid1(VALU_DEP_4)
	v_and_b32_e32 v0, 0x1ffffffc, v0
	v_and_b32_e32 v1, 0x1ffffffc, v1
	s_delay_alu instid0(VALU_DEP_4)
	v_and_b32_e32 v2, 0x1ffffffc, v2
	s_barrier
	buffer_gl0_inv
	v_lshl_add_u32 v0, v54, 2, v0
	v_lshl_add_u32 v1, v57, 2, v1
	;; [unrolled: 1-line block ×3, first 2 shown]
	v_lshrrev_b32_e32 v4, 3, v51
	v_and_b32_e32 v3, 0x1ffffffc, v3
	ds_store_b32 v0, v8
	ds_store_b32 v1, v49
	ds_store_b32 v2, v48
	v_lshrrev_b32_e32 v0, 3, v6
	v_lshrrev_b32_e32 v1, 3, v7
	;; [unrolled: 1-line block ×3, first 2 shown]
	v_and_b32_e32 v4, 0x1ffffffc, v4
	v_lshl_add_u32 v3, v5, 2, v3
	v_and_b32_e32 v0, 0x1ffffffc, v0
	v_and_b32_e32 v1, 0x1ffffffc, v1
	;; [unrolled: 1-line block ×3, first 2 shown]
	v_lshl_add_u32 v4, v51, 2, v4
	s_delay_alu instid0(VALU_DEP_4) | instskip(NEXT) | instid1(VALU_DEP_4)
	v_lshl_add_u32 v0, v6, 2, v0
	v_lshl_add_u32 v1, v7, 2, v1
	s_delay_alu instid0(VALU_DEP_4)
	v_lshl_add_u32 v2, v50, 2, v2
	ds_store_b32 v3, v47
	ds_store_b32 v0, v46
	;; [unrolled: 1-line block ×5, first 2 shown]
	s_waitcnt lgkmcnt(0)
	s_barrier
	buffer_gl0_inv
	ds_load_2addr_b32 v[16:17], v42 offset1:1
	ds_load_2addr_b32 v[5:6], v42 offset0:2 offset1:3
	ds_load_2addr_b32 v[7:8], v42 offset0:4 offset1:5
	;; [unrolled: 1-line block ×3, first 2 shown]
	s_waitcnt lgkmcnt(0)
	s_barrier
	buffer_gl0_inv
	s_and_saveexec_b32 s12, s0
	s_cbranch_execz .LBB40_32
; %bb.31:                               ;   in Loop: Header=BB40_2 Depth=1
	ds_store_2addr_stride64_b32 v40, v44, v44 offset0:10 offset1:15
.LBB40_32:                              ;   in Loop: Header=BB40_2 Depth=1
	s_or_b32 exec_lo, exec_lo, s12
	v_xor_b32_e32 v4, 0x80000000, v1
	v_xor_b32_e32 v3, 0x80000000, v0
	v_cmp_ne_u32_e32 vcc_lo, v0, v1
	s_waitcnt lgkmcnt(0)
	s_barrier
	v_mov_b32_e32 v0, v4
	buffer_gl0_inv
	ds_store_b32 v40, v4
	s_and_saveexec_b32 s12, vcc_lo
	s_cbranch_execz .LBB40_34
; %bb.33:                               ;   in Loop: Header=BB40_2 Depth=1
	v_dual_mov_b32 v0, v3 :: v_dual_lshlrev_b32 v1, 2, v4
	v_lshlrev_b32_e32 v2, 2, v3
	ds_store_b32 v1, v35 offset:2560
	ds_store_b32 v2, v35 offset:3840
.LBB40_34:                              ;   in Loop: Header=BB40_2 Depth=1
	s_or_b32 exec_lo, exec_lo, s12
	v_xor_b32_e32 v2, 0x80000000, v8
	s_mov_b32 s12, exec_lo
	s_delay_alu instid0(VALU_DEP_1)
	v_lshlrev_b32_e32 v45, 2, v2
	v_cmpx_ne_u32_e64 v2, v0
	s_cbranch_execz .LBB40_36
; %bb.35:                               ;   in Loop: Header=BB40_2 Depth=1
	v_lshlrev_b32_e32 v0, 2, v0
	ds_store_b32 v0, v34 offset:2560
	ds_store_b32 v45, v34 offset:3840
.LBB40_36:                              ;   in Loop: Header=BB40_2 Depth=1
	s_or_b32 exec_lo, exec_lo, s12
	v_xor_b32_e32 v1, 0x80000000, v7
	s_mov_b32 s12, exec_lo
	s_delay_alu instid0(VALU_DEP_1)
	v_lshlrev_b32_e32 v0, 2, v1
	v_cmpx_ne_u32_e64 v7, v8
	s_cbranch_execz .LBB40_38
; %bb.37:                               ;   in Loop: Header=BB40_2 Depth=1
	ds_store_b32 v45, v33 offset:2560
	ds_store_b32 v0, v33 offset:3840
.LBB40_38:                              ;   in Loop: Header=BB40_2 Depth=1
	s_or_b32 exec_lo, exec_lo, s12
	v_xor_b32_e32 v8, 0x80000000, v6
	s_mov_b32 s12, exec_lo
	s_delay_alu instid0(VALU_DEP_1)
	v_lshlrev_b32_e32 v45, 2, v8
	v_cmpx_ne_u32_e64 v6, v7
	s_cbranch_execz .LBB40_40
; %bb.39:                               ;   in Loop: Header=BB40_2 Depth=1
	ds_store_b32 v0, v32 offset:2560
	ds_store_b32 v45, v32 offset:3840
.LBB40_40:                              ;   in Loop: Header=BB40_2 Depth=1
	;; [unrolled: 11-line block ×5, first 2 shown]
	s_or_b32 exec_lo, exec_lo, s12
	s_waitcnt lgkmcnt(0)
	s_barrier
	buffer_gl0_inv
	s_and_saveexec_b32 s12, s11
	s_cbranch_execz .LBB40_49
; %bb.47:                               ;   in Loop: Header=BB40_2 Depth=1
	ds_load_b32 v16, v43
	s_waitcnt lgkmcnt(0)
	v_cmp_ne_u32_e32 vcc_lo, v16, v5
	s_and_b32 exec_lo, exec_lo, vcc_lo
	s_cbranch_execz .LBB40_49
; %bb.48:                               ;   in Loop: Header=BB40_2 Depth=1
	ds_store_b32 v0, v10 offset:2560
	ds_load_b32 v16, v43
	s_waitcnt lgkmcnt(0)
	v_lshlrev_b32_e32 v16, 2, v16
	ds_store_b32 v16, v10 offset:3840
.LBB40_49:                              ;   in Loop: Header=BB40_2 Depth=1
	s_or_b32 exec_lo, exec_lo, s12
	s_waitcnt lgkmcnt(0)
	s_barrier
	buffer_gl0_inv
	s_and_saveexec_b32 s12, s10
	s_cbranch_execz .LBB40_51
; %bb.50:                               ;   in Loop: Header=BB40_2 Depth=1
	ds_store_b32 v0, v11 offset:2560
.LBB40_51:                              ;   in Loop: Header=BB40_2 Depth=1
	s_or_b32 exec_lo, exec_lo, s12
	s_waitcnt lgkmcnt(0)
	s_barrier
	buffer_gl0_inv
	s_and_saveexec_b32 s12, s0
	s_cbranch_execz .LBB40_1
; %bb.52:                               ;   in Loop: Header=BB40_2 Depth=1
	ds_load_2addr_stride64_b32 v[16:17], v40 offset0:10 offset1:15
	ds_load_b32 v0, v37
	s_waitcnt lgkmcnt(1)
	v_sub_nc_u32_e32 v16, v17, v16
	s_waitcnt lgkmcnt(0)
	s_delay_alu instid0(VALU_DEP_1)
	v_add_nc_u32_e32 v0, v16, v0
	ds_store_b32 v37, v0
	s_branch .LBB40_1
.LBB40_53:
	s_and_saveexec_b32 s1, s0
	s_cbranch_execz .LBB40_55
; %bb.54:
	ds_load_b32 v2, v37
	v_mov_b32_e32 v10, 0
	s_delay_alu instid0(VALU_DEP_1) | instskip(NEXT) | instid1(VALU_DEP_1)
	v_lshlrev_b64 v[0:1], 2, v[9:10]
	v_add_co_u32 v0, vcc_lo, s18, v0
	s_delay_alu instid0(VALU_DEP_2)
	v_add_co_ci_u32_e32 v1, vcc_lo, s19, v1, vcc_lo
	s_waitcnt lgkmcnt(0)
	global_store_b32 v[0:1], v2, off
.LBB40_55:
	s_nop 0
	s_sendmsg sendmsg(MSG_DEALLOC_VGPRS)
	s_endpgm
	.section	.rodata,"a",@progbits
	.p2align	6, 0x0
	.amdhsa_kernel _Z6kernelI9histogramILN6hipcub23BlockHistogramAlgorithmE1EEiLj320ELj8ELj320ELj100EEvPKT0_PS4_
		.amdhsa_group_segment_fixed_size 11840
		.amdhsa_private_segment_fixed_size 0
		.amdhsa_kernarg_size 272
		.amdhsa_user_sgpr_count 15
		.amdhsa_user_sgpr_dispatch_ptr 0
		.amdhsa_user_sgpr_queue_ptr 0
		.amdhsa_user_sgpr_kernarg_segment_ptr 1
		.amdhsa_user_sgpr_dispatch_id 0
		.amdhsa_user_sgpr_private_segment_size 0
		.amdhsa_wavefront_size32 1
		.amdhsa_uses_dynamic_stack 0
		.amdhsa_enable_private_segment 0
		.amdhsa_system_sgpr_workgroup_id_x 1
		.amdhsa_system_sgpr_workgroup_id_y 0
		.amdhsa_system_sgpr_workgroup_id_z 0
		.amdhsa_system_sgpr_workgroup_info 0
		.amdhsa_system_vgpr_workitem_id 2
		.amdhsa_next_free_vgpr 75
		.amdhsa_next_free_sgpr 20
		.amdhsa_reserve_vcc 1
		.amdhsa_float_round_mode_32 0
		.amdhsa_float_round_mode_16_64 0
		.amdhsa_float_denorm_mode_32 3
		.amdhsa_float_denorm_mode_16_64 3
		.amdhsa_dx10_clamp 1
		.amdhsa_ieee_mode 1
		.amdhsa_fp16_overflow 0
		.amdhsa_workgroup_processor_mode 1
		.amdhsa_memory_ordered 1
		.amdhsa_forward_progress 0
		.amdhsa_shared_vgpr_count 0
		.amdhsa_exception_fp_ieee_invalid_op 0
		.amdhsa_exception_fp_denorm_src 0
		.amdhsa_exception_fp_ieee_div_zero 0
		.amdhsa_exception_fp_ieee_overflow 0
		.amdhsa_exception_fp_ieee_underflow 0
		.amdhsa_exception_fp_ieee_inexact 0
		.amdhsa_exception_int_div_zero 0
	.end_amdhsa_kernel
	.section	.text._Z6kernelI9histogramILN6hipcub23BlockHistogramAlgorithmE1EEiLj320ELj8ELj320ELj100EEvPKT0_PS4_,"axG",@progbits,_Z6kernelI9histogramILN6hipcub23BlockHistogramAlgorithmE1EEiLj320ELj8ELj320ELj100EEvPKT0_PS4_,comdat
.Lfunc_end40:
	.size	_Z6kernelI9histogramILN6hipcub23BlockHistogramAlgorithmE1EEiLj320ELj8ELj320ELj100EEvPKT0_PS4_, .Lfunc_end40-_Z6kernelI9histogramILN6hipcub23BlockHistogramAlgorithmE1EEiLj320ELj8ELj320ELj100EEvPKT0_PS4_
                                        ; -- End function
	.section	.AMDGPU.csdata,"",@progbits
; Kernel info:
; codeLenInByte = 5612
; NumSgprs: 22
; NumVgprs: 75
; ScratchSize: 0
; MemoryBound: 0
; FloatMode: 240
; IeeeMode: 1
; LDSByteSize: 11840 bytes/workgroup (compile time only)
; SGPRBlocks: 2
; VGPRBlocks: 9
; NumSGPRsForWavesPerEU: 22
; NumVGPRsForWavesPerEU: 75
; Occupancy: 15
; WaveLimiterHint : 0
; COMPUTE_PGM_RSRC2:SCRATCH_EN: 0
; COMPUTE_PGM_RSRC2:USER_SGPR: 15
; COMPUTE_PGM_RSRC2:TRAP_HANDLER: 0
; COMPUTE_PGM_RSRC2:TGID_X_EN: 1
; COMPUTE_PGM_RSRC2:TGID_Y_EN: 0
; COMPUTE_PGM_RSRC2:TGID_Z_EN: 0
; COMPUTE_PGM_RSRC2:TIDIG_COMP_CNT: 2
	.section	.text._Z6kernelI9histogramILN6hipcub23BlockHistogramAlgorithmE1EEiLj320ELj16ELj320ELj100EEvPKT0_PS4_,"axG",@progbits,_Z6kernelI9histogramILN6hipcub23BlockHistogramAlgorithmE1EEiLj320ELj16ELj320ELj100EEvPKT0_PS4_,comdat
	.protected	_Z6kernelI9histogramILN6hipcub23BlockHistogramAlgorithmE1EEiLj320ELj16ELj320ELj100EEvPKT0_PS4_ ; -- Begin function _Z6kernelI9histogramILN6hipcub23BlockHistogramAlgorithmE1EEiLj320ELj16ELj320ELj100EEvPKT0_PS4_
	.globl	_Z6kernelI9histogramILN6hipcub23BlockHistogramAlgorithmE1EEiLj320ELj16ELj320ELj100EEvPKT0_PS4_
	.p2align	8
	.type	_Z6kernelI9histogramILN6hipcub23BlockHistogramAlgorithmE1EEiLj320ELj16ELj320ELj100EEvPKT0_PS4_,@function
_Z6kernelI9histogramILN6hipcub23BlockHistogramAlgorithmE1EEiLj320ELj16ELj320ELj100EEvPKT0_PS4_: ; @_Z6kernelI9histogramILN6hipcub23BlockHistogramAlgorithmE1EEiLj320ELj16ELj320ELj100EEvPKT0_PS4_
; %bb.0:
	v_dual_mov_b32 v10, 0 :: v_dual_and_b32 v5, 0x3ff, v0
	s_clause 0x1
	s_load_b128 s[16:19], s[0:1], 0x0
	s_load_b32 s11, s[0:1], 0x1c
	s_mov_b32 s14, 0
	v_mad_u64_u32 v[8:9], null, 0x140, s15, v[5:6]
	v_and_b32_e32 v24, 0x1e0, v5
	v_lshrrev_b32_e32 v25, 3, v5
	v_lshlrev_b32_e32 v19, 5, v5
	v_lshrrev_b32_e32 v26, 1, v5
	v_cmp_gt_u32_e64 s0, 0x140, v5
	v_min_u32_e32 v44, 0x120, v24
	v_lshlrev_b32_e32 v9, 4, v8
	v_and_b32_e32 v25, 60, v25
	v_cmp_gt_u32_e64 s7, 10, v5
	v_cmp_lt_u32_e64 s8, 31, v5
	v_or_b32_e32 v67, 31, v44
	v_lshlrev_b64 v[1:2], 2, v[9:10]
	v_lshlrev_b32_e32 v9, 4, v5
	v_cmp_eq_u32_e64 s9, 0, v5
	v_cmp_ne_u32_e64 s10, 0, v5
	v_add_nc_u32_e32 v23, 40, v19
	s_waitcnt lgkmcnt(0)
	s_lshr_b32 s12, s11, 16
	v_add_co_u32 v6, vcc_lo, s16, v1
	v_add_co_ci_u32_e32 v7, vcc_lo, s17, v2, vcc_lo
	v_and_b32_e32 v43, 0x1e00, v9
	s_and_b32 s13, s11, 0xffff
	v_add_lshl_u32 v26, v26, v9, 2
	s_clause 0x3
	global_load_b128 v[1:4], v[6:7], off
	global_load_b128 v[11:14], v[6:7], off offset:16
	global_load_b128 v[15:18], v[6:7], off offset:32
	;; [unrolled: 1-line block ×3, first 2 shown]
	v_mbcnt_lo_u32_b32 v6, -1, 0
	v_bfe_u32 v7, v0, 10, 10
	v_bfe_u32 v0, v0, 20, 10
	v_or_b32_e32 v47, 32, v43
	v_or_b32_e32 v48, 64, v43
	v_add_nc_u32_e32 v22, -1, v6
	v_and_b32_e32 v20, 15, v6
	v_or_b32_e32 v45, v6, v24
	v_and_b32_e32 v21, 16, v6
	v_cmp_eq_u32_e64 s1, 0, v6
	v_cmp_gt_i32_e32 vcc_lo, 0, v22
	v_cmp_eq_u32_e64 s2, 0, v20
	v_cmp_lt_u32_e64 s3, 1, v20
	v_cmp_lt_u32_e64 s4, 3, v20
	;; [unrolled: 1-line block ×3, first 2 shown]
	v_cndmask_b32_e32 v20, v22, v6, vcc_lo
	v_or_b32_e32 v60, v6, v43
	v_lshrrev_b32_e32 v6, 5, v43
	v_mad_u32_u24 v0, v0, s12, v7
	v_lshlrev_b32_e32 v46, 1, v45
	v_or_b32_e32 v49, 0x60, v43
	v_or_b32_e32 v50, 0x80, v43
	;; [unrolled: 1-line block ×13, first 2 shown]
	v_add_lshl_u32 v44, v6, v60, 2
	v_mad_u64_u32 v[6:7], null, v0, s13, v[5:6]
	v_lshlrev_b32_e32 v22, 2, v5
	v_and_b32_e32 v46, 0x3fc, v46
	v_lshrrev_b32_e32 v47, 5, v47
	v_lshrrev_b32_e32 v48, 5, v48
	;; [unrolled: 1-line block ×15, first 2 shown]
	v_lshlrev_b32_e32 v24, 2, v20
	v_add_nc_u32_e32 v20, 0x5280, v22
	v_or_b32_e32 v27, 15, v9
	v_or_b32_e32 v28, 14, v9
	;; [unrolled: 1-line block ×15, first 2 shown]
	v_add_nc_u32_e32 v42, -4, v22
	v_add_nc_u32_e32 v43, -4, v25
	v_cmp_eq_u32_e64 s11, v67, v5
	v_lshl_add_u32 v45, v45, 6, v46
	v_add_lshl_u32 v46, v47, v60, 2
	v_add_lshl_u32 v47, v48, v60, 2
	;; [unrolled: 1-line block ×15, first 2 shown]
	v_lshrrev_b32_e32 v61, 5, v6
	s_mov_b32 s15, s14
	s_mov_b32 s16, s14
	;; [unrolled: 1-line block ×4, first 2 shown]
	s_waitcnt vmcnt(3)
	v_xor_b32_e32 v0, 0x80000000, v1
	v_xor_b32_e32 v1, 0x80000000, v2
	v_xor_b32_e32 v2, 0x80000000, v3
	v_xor_b32_e32 v3, 0x80000000, v4
	s_waitcnt vmcnt(2)
	v_xor_b32_e32 v4, 0x80000000, v11
	v_xor_b32_e32 v6, 0x80000000, v13
	;; [unrolled: 1-line block ×3, first 2 shown]
	s_waitcnt vmcnt(1)
	v_xor_b32_e32 v11, 0x80000000, v15
	v_xor_b32_e32 v13, 0x80000000, v17
	;; [unrolled: 1-line block ×3, first 2 shown]
	s_waitcnt vmcnt(0)
	v_xor_b32_e32 v15, 0x80000000, v62
	v_mov_b32_e32 v62, 0x1400
	v_cmp_eq_u32_e64 s6, 0, v21
	v_mul_i32_i24_e32 v21, 0xffffffe4, v5
	v_xor_b32_e32 v5, 0x80000000, v12
	v_xor_b32_e32 v12, 0x80000000, v16
	;; [unrolled: 1-line block ×5, first 2 shown]
	s_branch .LBB41_2
.LBB41_1:                               ;   in Loop: Header=BB41_2 Depth=1
	s_or_b32 exec_lo, exec_lo, s12
	s_add_i32 s13, s13, 1
	s_delay_alu instid0(SALU_CYCLE_1)
	s_cmpk_lg_i32 s13, 0x64
	s_cbranch_scc0 .LBB41_85
.LBB41_2:                               ; =>This Loop Header: Depth=1
                                        ;     Child Loop BB41_6 Depth 2
	s_and_saveexec_b32 s12, s0
	s_cbranch_execz .LBB41_4
; %bb.3:                                ;   in Loop: Header=BB41_2 Depth=1
	ds_store_b32 v20, v10
.LBB41_4:                               ;   in Loop: Header=BB41_2 Depth=1
	s_or_b32 exec_lo, exec_lo, s12
	s_waitcnt lgkmcnt(0)
	s_barrier
	buffer_gl0_inv
	ds_store_2addr_b32 v45, v0, v1 offset1:1
	ds_store_2addr_b32 v45, v2, v3 offset0:2 offset1:3
	ds_store_2addr_b32 v45, v4, v5 offset0:4 offset1:5
	;; [unrolled: 1-line block ×7, first 2 shown]
	; wave barrier
	ds_load_b32 v92, v44
	ds_load_b32 v93, v46 offset:128
	ds_load_b32 v94, v47 offset:256
	;; [unrolled: 1-line block ×15, first 2 shown]
	s_mov_b32 s20, 0
	s_waitcnt lgkmcnt(0)
	s_barrier
	buffer_gl0_inv
	; wave barrier
	s_barrier
	s_branch .LBB41_6
.LBB41_5:                               ;   in Loop: Header=BB41_6 Depth=2
	v_lshrrev_b32_e32 v79, 3, v78
	v_lshrrev_b32_e32 v80, 3, v73
	;; [unrolled: 1-line block ×5, first 2 shown]
	v_and_b32_e32 v79, 0x1ffffffc, v79
	v_lshrrev_b32_e32 v84, 3, v77
	v_and_b32_e32 v80, 0x1ffffffc, v80
	v_and_b32_e32 v81, 0x1ffffffc, v81
	;; [unrolled: 1-line block ×3, first 2 shown]
	v_lshl_add_u32 v79, v78, 2, v79
	v_and_b32_e32 v83, 0x1ffffffc, v83
	s_barrier
	buffer_gl0_inv
	ds_store_b32 v79, v13
	v_and_b32_e32 v79, 0x1ffffffc, v84
	v_lshl_add_u32 v80, v73, 2, v80
	v_lshl_add_u32 v81, v74, 2, v81
	;; [unrolled: 1-line block ×5, first 2 shown]
	ds_store_b32 v80, v12
	ds_store_b32 v81, v11
	;; [unrolled: 1-line block ×5, first 2 shown]
	v_lshrrev_b32_e32 v79, 3, v5
	v_lshrrev_b32_e32 v80, 3, v6
	;; [unrolled: 1-line block ×5, first 2 shown]
	v_and_b32_e32 v79, 0x1ffffffc, v79
	v_and_b32_e32 v80, 0x1ffffffc, v80
	;; [unrolled: 1-line block ×5, first 2 shown]
	v_lshl_add_u32 v79, v5, 2, v79
	v_lshl_add_u32 v80, v6, 2, v80
	;; [unrolled: 1-line block ×5, first 2 shown]
	ds_store_b32 v79, v66
	ds_store_b32 v80, v67
	;; [unrolled: 1-line block ×5, first 2 shown]
	v_lshrrev_b32_e32 v79, 3, v0
	v_lshrrev_b32_e32 v80, 3, v1
	;; [unrolled: 1-line block ×5, first 2 shown]
	v_and_b32_e32 v79, 0x1ffffffc, v79
	v_and_b32_e32 v80, 0x1ffffffc, v80
	v_and_b32_e32 v81, 0x1ffffffc, v81
	v_and_b32_e32 v82, 0x1ffffffc, v82
	v_and_b32_e32 v83, 0x1ffffffc, v83
	v_lshl_add_u32 v79, v0, 2, v79
	v_lshl_add_u32 v80, v1, 2, v80
	;; [unrolled: 1-line block ×5, first 2 shown]
	ds_store_b32 v79, v17
	ds_store_b32 v80, v64
	ds_store_b32 v81, v63
	ds_store_b32 v82, v18
	ds_store_b32 v83, v65
	s_waitcnt lgkmcnt(0)
	s_barrier
	buffer_gl0_inv
	ds_load_b32 v92, v44
	ds_load_b32 v93, v46 offset:128
	ds_load_b32 v94, v47 offset:256
	;; [unrolled: 1-line block ×15, first 2 shown]
	s_add_i32 s20, s20, 8
	s_waitcnt lgkmcnt(0)
	s_barrier
	s_cbranch_execz .LBB41_46
.LBB41_6:                               ;   Parent Loop BB41_2 Depth=1
                                        ; =>  This Inner Loop Header: Depth=2
	v_dual_mov_b32 v13, v92 :: v_dual_mov_b32 v12, v93
	buffer_gl0_inv
	v_dual_mov_b32 v11, v94 :: v_dual_mov_b32 v16, v89
	v_bfe_u32 v0, v13, s20, 1
	v_lshrrev_b32_e32 v1, s20, v13
	v_dual_mov_b32 v14, v90 :: v_dual_mov_b32 v15, v91
	v_mov_b32_e32 v64, v83
	s_delay_alu instid0(VALU_DEP_4) | instskip(NEXT) | instid1(VALU_DEP_1)
	v_add_co_u32 v0, s12, v0, -1
	v_cndmask_b32_e64 v2, 0, 1, s12
	v_dual_mov_b32 v66, v88 :: v_dual_lshlrev_b32 v3, 30, v1
	v_dual_mov_b32 v67, v82 :: v_dual_lshlrev_b32 v4, 29, v1
	s_delay_alu instid0(VALU_DEP_3) | instskip(NEXT) | instid1(VALU_DEP_3)
	v_cmp_ne_u32_e32 vcc_lo, 0, v2
	v_not_b32_e32 v2, v3
	v_dual_mov_b32 v68, v81 :: v_dual_lshlrev_b32 v5, 28, v1
	v_cmp_gt_i32_e64 s12, 0, v3
	v_not_b32_e32 v3, v4
	v_xor_b32_e32 v0, vcc_lo, v0
	v_ashrrev_i32_e32 v2, 31, v2
	v_dual_mov_b32 v69, v80 :: v_dual_lshlrev_b32 v6, 27, v1
	v_cmp_gt_i32_e32 vcc_lo, 0, v4
	v_not_b32_e32 v4, v5
	v_ashrrev_i32_e32 v3, 31, v3
	v_dual_mov_b32 v17, v84 :: v_dual_and_b32 v0, exec_lo, v0
	v_xor_b32_e32 v2, s12, v2
	v_cmp_gt_i32_e64 s12, 0, v5
	v_not_b32_e32 v5, v6
	v_ashrrev_i32_e32 v4, 31, v4
	v_xor_b32_e32 v3, vcc_lo, v3
	v_dual_mov_b32 v63, v85 :: v_dual_and_b32 v0, v0, v2
	v_lshlrev_b32_e32 v2, 26, v1
	v_cmp_gt_i32_e32 vcc_lo, 0, v6
	v_ashrrev_i32_e32 v5, 31, v5
	v_xor_b32_e32 v4, s12, v4
	v_and_b32_e32 v0, v0, v3
	v_not_b32_e32 v3, v2
	v_dual_mov_b32 v65, v86 :: v_dual_lshlrev_b32 v6, 25, v1
	v_cmp_gt_i32_e64 s12, 0, v2
	v_xor_b32_e32 v2, vcc_lo, v5
	v_and_b32_e32 v0, v0, v4
	v_ashrrev_i32_e32 v3, 31, v3
	v_not_b32_e32 v4, v6
	v_dual_mov_b32 v70, v79 :: v_dual_lshlrev_b32 v1, 24, v1
	s_delay_alu instid0(VALU_DEP_4) | instskip(NEXT) | instid1(VALU_DEP_4)
	v_and_b32_e32 v0, v0, v2
	v_xor_b32_e32 v2, s12, v3
	v_cmp_gt_i32_e32 vcc_lo, 0, v6
	v_ashrrev_i32_e32 v3, 31, v4
	v_not_b32_e32 v4, v1
	v_bfe_u32 v5, v13, s20, 8
	v_and_b32_e32 v0, v0, v2
	v_mov_b32_e32 v18, v87
	v_xor_b32_e32 v2, vcc_lo, v3
	v_cmp_gt_i32_e32 vcc_lo, 0, v1
	v_ashrrev_i32_e32 v1, 31, v4
	s_delay_alu instid0(VALU_DEP_3) | instskip(NEXT) | instid1(VALU_DEP_2)
	v_and_b32_e32 v0, v0, v2
	v_xor_b32_e32 v3, vcc_lo, v1
	v_dual_mov_b32 v1, s14 :: v_dual_mov_b32 v2, s15
	s_delay_alu instid0(VALU_DEP_2)
	v_dual_mov_b32 v3, s16 :: v_dual_and_b32 v0, v0, v3
	v_mov_b32_e32 v4, s17
	ds_store_2addr_b64 v19, v[1:2], v[3:4] offset0:5 offset1:6
	ds_store_2addr_b64 v23, v[1:2], v[3:4] offset0:2 offset1:3
	v_mbcnt_lo_u32_b32 v71, v0, 0
	v_mad_u32_u24 v1, v5, 10, v61
	v_cmp_ne_u32_e64 s12, 0, v0
	s_waitcnt lgkmcnt(0)
	s_barrier
	v_cmp_eq_u32_e32 vcc_lo, 0, v71
	v_lshl_add_u32 v72, v1, 2, 40
	buffer_gl0_inv
	; wave barrier
	s_and_b32 s21, s12, vcc_lo
	s_delay_alu instid0(SALU_CYCLE_1)
	s_and_saveexec_b32 s12, s21
	s_cbranch_execz .LBB41_8
; %bb.7:                                ;   in Loop: Header=BB41_6 Depth=2
	v_bcnt_u32_b32 v0, v0, 0
	ds_store_b32 v72, v0
.LBB41_8:                               ;   in Loop: Header=BB41_6 Depth=2
	s_or_b32 exec_lo, exec_lo, s12
	v_bfe_u32 v0, v12, s20, 1
	v_lshrrev_b32_e32 v1, s20, v12
	; wave barrier
	s_delay_alu instid0(VALU_DEP_2) | instskip(NEXT) | instid1(VALU_DEP_1)
	v_add_co_u32 v0, s12, v0, -1
	v_cndmask_b32_e64 v2, 0, 1, s12
	s_delay_alu instid0(VALU_DEP_3)
	v_lshlrev_b32_e32 v3, 30, v1
	v_lshlrev_b32_e32 v4, 29, v1
	;; [unrolled: 1-line block ×4, first 2 shown]
	v_cmp_ne_u32_e32 vcc_lo, 0, v2
	v_not_b32_e32 v2, v3
	v_cmp_gt_i32_e64 s12, 0, v3
	v_not_b32_e32 v3, v4
	v_lshlrev_b32_e32 v7, 26, v1
	v_xor_b32_e32 v0, vcc_lo, v0
	v_ashrrev_i32_e32 v2, 31, v2
	v_cmp_gt_i32_e32 vcc_lo, 0, v4
	v_not_b32_e32 v4, v5
	v_ashrrev_i32_e32 v3, 31, v3
	v_and_b32_e32 v0, exec_lo, v0
	v_xor_b32_e32 v2, s12, v2
	v_cmp_gt_i32_e64 s12, 0, v5
	v_not_b32_e32 v5, v6
	v_ashrrev_i32_e32 v4, 31, v4
	v_xor_b32_e32 v3, vcc_lo, v3
	v_and_b32_e32 v0, v0, v2
	v_cmp_gt_i32_e32 vcc_lo, 0, v6
	v_not_b32_e32 v2, v7
	v_ashrrev_i32_e32 v5, 31, v5
	v_xor_b32_e32 v4, s12, v4
	v_and_b32_e32 v0, v0, v3
	v_lshlrev_b32_e32 v3, 25, v1
	v_cmp_gt_i32_e64 s12, 0, v7
	v_ashrrev_i32_e32 v2, 31, v2
	v_xor_b32_e32 v5, vcc_lo, v5
	v_and_b32_e32 v0, v0, v4
	v_not_b32_e32 v6, v3
	v_lshlrev_b32_e32 v1, 24, v1
	v_bfe_u32 v4, v12, s20, 8
	v_xor_b32_e32 v2, s12, v2
	v_and_b32_e32 v0, v0, v5
	v_cmp_gt_i32_e32 vcc_lo, 0, v3
	v_ashrrev_i32_e32 v3, 31, v6
	v_not_b32_e32 v5, v1
	v_mul_u32_u24_e32 v4, 10, v4
	v_and_b32_e32 v0, v0, v2
	s_delay_alu instid0(VALU_DEP_4) | instskip(SKIP_3) | instid1(VALU_DEP_4)
	v_xor_b32_e32 v2, vcc_lo, v3
	v_cmp_gt_i32_e32 vcc_lo, 0, v1
	v_ashrrev_i32_e32 v1, 31, v5
	v_add_lshl_u32 v3, v4, v61, 2
	v_and_b32_e32 v0, v0, v2
	s_delay_alu instid0(VALU_DEP_3) | instskip(SKIP_3) | instid1(VALU_DEP_1)
	v_xor_b32_e32 v1, vcc_lo, v1
	ds_load_b32 v73, v3 offset:40
	v_add_nc_u32_e32 v75, 40, v3
	; wave barrier
	v_and_b32_e32 v0, v0, v1
	v_mbcnt_lo_u32_b32 v74, v0, 0
	v_cmp_ne_u32_e64 s12, 0, v0
	s_delay_alu instid0(VALU_DEP_2) | instskip(NEXT) | instid1(VALU_DEP_2)
	v_cmp_eq_u32_e32 vcc_lo, 0, v74
	s_and_b32 s21, s12, vcc_lo
	s_delay_alu instid0(SALU_CYCLE_1)
	s_and_saveexec_b32 s12, s21
	s_cbranch_execz .LBB41_10
; %bb.9:                                ;   in Loop: Header=BB41_6 Depth=2
	s_waitcnt lgkmcnt(0)
	v_bcnt_u32_b32 v0, v0, v73
	ds_store_b32 v75, v0
.LBB41_10:                              ;   in Loop: Header=BB41_6 Depth=2
	s_or_b32 exec_lo, exec_lo, s12
	v_bfe_u32 v0, v11, s20, 1
	v_lshrrev_b32_e32 v1, s20, v11
	; wave barrier
	s_delay_alu instid0(VALU_DEP_2) | instskip(NEXT) | instid1(VALU_DEP_1)
	v_add_co_u32 v0, s12, v0, -1
	v_cndmask_b32_e64 v2, 0, 1, s12
	s_delay_alu instid0(VALU_DEP_3)
	v_lshlrev_b32_e32 v3, 30, v1
	v_lshlrev_b32_e32 v4, 29, v1
	v_lshlrev_b32_e32 v5, 28, v1
	v_lshlrev_b32_e32 v6, 27, v1
	v_cmp_ne_u32_e32 vcc_lo, 0, v2
	v_not_b32_e32 v2, v3
	v_cmp_gt_i32_e64 s12, 0, v3
	v_not_b32_e32 v3, v4
	v_lshlrev_b32_e32 v7, 26, v1
	v_xor_b32_e32 v0, vcc_lo, v0
	v_ashrrev_i32_e32 v2, 31, v2
	v_cmp_gt_i32_e32 vcc_lo, 0, v4
	v_not_b32_e32 v4, v5
	v_ashrrev_i32_e32 v3, 31, v3
	v_and_b32_e32 v0, exec_lo, v0
	v_xor_b32_e32 v2, s12, v2
	v_cmp_gt_i32_e64 s12, 0, v5
	v_not_b32_e32 v5, v6
	v_ashrrev_i32_e32 v4, 31, v4
	v_xor_b32_e32 v3, vcc_lo, v3
	v_and_b32_e32 v0, v0, v2
	v_cmp_gt_i32_e32 vcc_lo, 0, v6
	v_not_b32_e32 v2, v7
	v_ashrrev_i32_e32 v5, 31, v5
	v_xor_b32_e32 v4, s12, v4
	v_and_b32_e32 v0, v0, v3
	v_lshlrev_b32_e32 v3, 25, v1
	v_cmp_gt_i32_e64 s12, 0, v7
	v_ashrrev_i32_e32 v2, 31, v2
	v_xor_b32_e32 v5, vcc_lo, v5
	v_and_b32_e32 v0, v0, v4
	v_not_b32_e32 v6, v3
	v_lshlrev_b32_e32 v1, 24, v1
	v_bfe_u32 v4, v11, s20, 8
	v_xor_b32_e32 v2, s12, v2
	v_and_b32_e32 v0, v0, v5
	v_cmp_gt_i32_e32 vcc_lo, 0, v3
	v_ashrrev_i32_e32 v3, 31, v6
	v_not_b32_e32 v5, v1
	v_mul_u32_u24_e32 v4, 10, v4
	v_and_b32_e32 v0, v0, v2
	s_delay_alu instid0(VALU_DEP_4) | instskip(SKIP_3) | instid1(VALU_DEP_4)
	v_xor_b32_e32 v2, vcc_lo, v3
	v_cmp_gt_i32_e32 vcc_lo, 0, v1
	v_ashrrev_i32_e32 v1, 31, v5
	v_add_lshl_u32 v3, v4, v61, 2
	v_and_b32_e32 v0, v0, v2
	s_delay_alu instid0(VALU_DEP_3) | instskip(SKIP_3) | instid1(VALU_DEP_1)
	v_xor_b32_e32 v1, vcc_lo, v1
	ds_load_b32 v76, v3 offset:40
	v_add_nc_u32_e32 v78, 40, v3
	; wave barrier
	v_and_b32_e32 v0, v0, v1
	v_mbcnt_lo_u32_b32 v77, v0, 0
	v_cmp_ne_u32_e64 s12, 0, v0
	s_delay_alu instid0(VALU_DEP_2) | instskip(NEXT) | instid1(VALU_DEP_2)
	v_cmp_eq_u32_e32 vcc_lo, 0, v77
	s_and_b32 s21, s12, vcc_lo
	s_delay_alu instid0(SALU_CYCLE_1)
	s_and_saveexec_b32 s12, s21
	s_cbranch_execz .LBB41_12
; %bb.11:                               ;   in Loop: Header=BB41_6 Depth=2
	s_waitcnt lgkmcnt(0)
	v_bcnt_u32_b32 v0, v0, v76
	ds_store_b32 v78, v0
.LBB41_12:                              ;   in Loop: Header=BB41_6 Depth=2
	s_or_b32 exec_lo, exec_lo, s12
	v_bfe_u32 v0, v14, s20, 1
	v_lshrrev_b32_e32 v1, s20, v14
	; wave barrier
	s_delay_alu instid0(VALU_DEP_2) | instskip(NEXT) | instid1(VALU_DEP_1)
	v_add_co_u32 v0, s12, v0, -1
	v_cndmask_b32_e64 v2, 0, 1, s12
	s_delay_alu instid0(VALU_DEP_3)
	v_lshlrev_b32_e32 v3, 30, v1
	v_lshlrev_b32_e32 v4, 29, v1
	;; [unrolled: 1-line block ×4, first 2 shown]
	v_cmp_ne_u32_e32 vcc_lo, 0, v2
	v_not_b32_e32 v2, v3
	v_cmp_gt_i32_e64 s12, 0, v3
	v_not_b32_e32 v3, v4
	v_lshlrev_b32_e32 v7, 26, v1
	v_xor_b32_e32 v0, vcc_lo, v0
	v_ashrrev_i32_e32 v2, 31, v2
	v_cmp_gt_i32_e32 vcc_lo, 0, v4
	v_not_b32_e32 v4, v5
	v_ashrrev_i32_e32 v3, 31, v3
	v_and_b32_e32 v0, exec_lo, v0
	v_xor_b32_e32 v2, s12, v2
	v_cmp_gt_i32_e64 s12, 0, v5
	v_not_b32_e32 v5, v6
	v_ashrrev_i32_e32 v4, 31, v4
	v_xor_b32_e32 v3, vcc_lo, v3
	v_and_b32_e32 v0, v0, v2
	v_cmp_gt_i32_e32 vcc_lo, 0, v6
	v_not_b32_e32 v2, v7
	v_ashrrev_i32_e32 v5, 31, v5
	v_xor_b32_e32 v4, s12, v4
	v_and_b32_e32 v0, v0, v3
	v_lshlrev_b32_e32 v3, 25, v1
	v_cmp_gt_i32_e64 s12, 0, v7
	v_ashrrev_i32_e32 v2, 31, v2
	v_xor_b32_e32 v5, vcc_lo, v5
	v_and_b32_e32 v0, v0, v4
	v_not_b32_e32 v6, v3
	v_lshlrev_b32_e32 v1, 24, v1
	v_bfe_u32 v4, v14, s20, 8
	v_xor_b32_e32 v2, s12, v2
	v_and_b32_e32 v0, v0, v5
	v_cmp_gt_i32_e32 vcc_lo, 0, v3
	v_ashrrev_i32_e32 v3, 31, v6
	v_not_b32_e32 v5, v1
	v_mul_u32_u24_e32 v4, 10, v4
	v_and_b32_e32 v0, v0, v2
	s_delay_alu instid0(VALU_DEP_4) | instskip(SKIP_3) | instid1(VALU_DEP_4)
	v_xor_b32_e32 v2, vcc_lo, v3
	v_cmp_gt_i32_e32 vcc_lo, 0, v1
	v_ashrrev_i32_e32 v1, 31, v5
	v_add_lshl_u32 v3, v4, v61, 2
	v_and_b32_e32 v0, v0, v2
	s_delay_alu instid0(VALU_DEP_3) | instskip(SKIP_3) | instid1(VALU_DEP_1)
	v_xor_b32_e32 v1, vcc_lo, v1
	ds_load_b32 v79, v3 offset:40
	v_add_nc_u32_e32 v81, 40, v3
	; wave barrier
	v_and_b32_e32 v0, v0, v1
	v_mbcnt_lo_u32_b32 v80, v0, 0
	v_cmp_ne_u32_e64 s12, 0, v0
	s_delay_alu instid0(VALU_DEP_2) | instskip(NEXT) | instid1(VALU_DEP_2)
	v_cmp_eq_u32_e32 vcc_lo, 0, v80
	s_and_b32 s21, s12, vcc_lo
	s_delay_alu instid0(SALU_CYCLE_1)
	s_and_saveexec_b32 s12, s21
	s_cbranch_execz .LBB41_14
; %bb.13:                               ;   in Loop: Header=BB41_6 Depth=2
	s_waitcnt lgkmcnt(0)
	v_bcnt_u32_b32 v0, v0, v79
	ds_store_b32 v81, v0
.LBB41_14:                              ;   in Loop: Header=BB41_6 Depth=2
	s_or_b32 exec_lo, exec_lo, s12
	v_bfe_u32 v0, v15, s20, 1
	v_lshrrev_b32_e32 v1, s20, v15
	; wave barrier
	s_delay_alu instid0(VALU_DEP_2) | instskip(NEXT) | instid1(VALU_DEP_1)
	v_add_co_u32 v0, s12, v0, -1
	v_cndmask_b32_e64 v2, 0, 1, s12
	s_delay_alu instid0(VALU_DEP_3)
	v_lshlrev_b32_e32 v3, 30, v1
	v_lshlrev_b32_e32 v4, 29, v1
	;; [unrolled: 1-line block ×4, first 2 shown]
	v_cmp_ne_u32_e32 vcc_lo, 0, v2
	v_not_b32_e32 v2, v3
	v_cmp_gt_i32_e64 s12, 0, v3
	v_not_b32_e32 v3, v4
	v_lshlrev_b32_e32 v7, 26, v1
	v_xor_b32_e32 v0, vcc_lo, v0
	v_ashrrev_i32_e32 v2, 31, v2
	v_cmp_gt_i32_e32 vcc_lo, 0, v4
	v_not_b32_e32 v4, v5
	v_ashrrev_i32_e32 v3, 31, v3
	v_and_b32_e32 v0, exec_lo, v0
	v_xor_b32_e32 v2, s12, v2
	v_cmp_gt_i32_e64 s12, 0, v5
	v_not_b32_e32 v5, v6
	v_ashrrev_i32_e32 v4, 31, v4
	v_xor_b32_e32 v3, vcc_lo, v3
	v_and_b32_e32 v0, v0, v2
	v_cmp_gt_i32_e32 vcc_lo, 0, v6
	v_not_b32_e32 v2, v7
	v_ashrrev_i32_e32 v5, 31, v5
	v_xor_b32_e32 v4, s12, v4
	v_and_b32_e32 v0, v0, v3
	v_lshlrev_b32_e32 v3, 25, v1
	v_cmp_gt_i32_e64 s12, 0, v7
	v_ashrrev_i32_e32 v2, 31, v2
	v_xor_b32_e32 v5, vcc_lo, v5
	v_and_b32_e32 v0, v0, v4
	v_not_b32_e32 v6, v3
	v_lshlrev_b32_e32 v1, 24, v1
	v_bfe_u32 v4, v15, s20, 8
	v_xor_b32_e32 v2, s12, v2
	v_and_b32_e32 v0, v0, v5
	v_cmp_gt_i32_e32 vcc_lo, 0, v3
	v_ashrrev_i32_e32 v3, 31, v6
	v_not_b32_e32 v5, v1
	v_mul_u32_u24_e32 v4, 10, v4
	v_and_b32_e32 v0, v0, v2
	s_delay_alu instid0(VALU_DEP_4) | instskip(SKIP_3) | instid1(VALU_DEP_4)
	v_xor_b32_e32 v2, vcc_lo, v3
	v_cmp_gt_i32_e32 vcc_lo, 0, v1
	v_ashrrev_i32_e32 v1, 31, v5
	v_add_lshl_u32 v3, v4, v61, 2
	v_and_b32_e32 v0, v0, v2
	s_delay_alu instid0(VALU_DEP_3) | instskip(SKIP_3) | instid1(VALU_DEP_1)
	v_xor_b32_e32 v1, vcc_lo, v1
	ds_load_b32 v82, v3 offset:40
	v_add_nc_u32_e32 v84, 40, v3
	; wave barrier
	v_and_b32_e32 v0, v0, v1
	v_mbcnt_lo_u32_b32 v83, v0, 0
	v_cmp_ne_u32_e64 s12, 0, v0
	s_delay_alu instid0(VALU_DEP_2) | instskip(NEXT) | instid1(VALU_DEP_2)
	v_cmp_eq_u32_e32 vcc_lo, 0, v83
	s_and_b32 s21, s12, vcc_lo
	s_delay_alu instid0(SALU_CYCLE_1)
	s_and_saveexec_b32 s12, s21
	s_cbranch_execz .LBB41_16
; %bb.15:                               ;   in Loop: Header=BB41_6 Depth=2
	s_waitcnt lgkmcnt(0)
	v_bcnt_u32_b32 v0, v0, v82
	ds_store_b32 v84, v0
.LBB41_16:                              ;   in Loop: Header=BB41_6 Depth=2
	s_or_b32 exec_lo, exec_lo, s12
	v_bfe_u32 v0, v16, s20, 1
	v_lshrrev_b32_e32 v1, s20, v16
	; wave barrier
	s_delay_alu instid0(VALU_DEP_2) | instskip(NEXT) | instid1(VALU_DEP_1)
	v_add_co_u32 v0, s12, v0, -1
	v_cndmask_b32_e64 v2, 0, 1, s12
	s_delay_alu instid0(VALU_DEP_3)
	v_lshlrev_b32_e32 v3, 30, v1
	v_lshlrev_b32_e32 v4, 29, v1
	;; [unrolled: 1-line block ×4, first 2 shown]
	v_cmp_ne_u32_e32 vcc_lo, 0, v2
	v_not_b32_e32 v2, v3
	v_cmp_gt_i32_e64 s12, 0, v3
	v_not_b32_e32 v3, v4
	v_lshlrev_b32_e32 v7, 26, v1
	v_xor_b32_e32 v0, vcc_lo, v0
	v_ashrrev_i32_e32 v2, 31, v2
	v_cmp_gt_i32_e32 vcc_lo, 0, v4
	v_not_b32_e32 v4, v5
	v_ashrrev_i32_e32 v3, 31, v3
	v_and_b32_e32 v0, exec_lo, v0
	v_xor_b32_e32 v2, s12, v2
	v_cmp_gt_i32_e64 s12, 0, v5
	v_not_b32_e32 v5, v6
	v_ashrrev_i32_e32 v4, 31, v4
	v_xor_b32_e32 v3, vcc_lo, v3
	v_and_b32_e32 v0, v0, v2
	v_cmp_gt_i32_e32 vcc_lo, 0, v6
	v_not_b32_e32 v2, v7
	v_ashrrev_i32_e32 v5, 31, v5
	v_xor_b32_e32 v4, s12, v4
	v_and_b32_e32 v0, v0, v3
	v_lshlrev_b32_e32 v3, 25, v1
	v_cmp_gt_i32_e64 s12, 0, v7
	v_ashrrev_i32_e32 v2, 31, v2
	v_xor_b32_e32 v5, vcc_lo, v5
	v_and_b32_e32 v0, v0, v4
	v_not_b32_e32 v6, v3
	v_lshlrev_b32_e32 v1, 24, v1
	v_bfe_u32 v4, v16, s20, 8
	v_xor_b32_e32 v2, s12, v2
	v_and_b32_e32 v0, v0, v5
	v_cmp_gt_i32_e32 vcc_lo, 0, v3
	v_ashrrev_i32_e32 v3, 31, v6
	v_not_b32_e32 v5, v1
	v_mul_u32_u24_e32 v4, 10, v4
	v_and_b32_e32 v0, v0, v2
	s_delay_alu instid0(VALU_DEP_4) | instskip(SKIP_3) | instid1(VALU_DEP_4)
	v_xor_b32_e32 v2, vcc_lo, v3
	v_cmp_gt_i32_e32 vcc_lo, 0, v1
	v_ashrrev_i32_e32 v1, 31, v5
	v_add_lshl_u32 v3, v4, v61, 2
	v_and_b32_e32 v0, v0, v2
	s_delay_alu instid0(VALU_DEP_3) | instskip(SKIP_3) | instid1(VALU_DEP_1)
	v_xor_b32_e32 v1, vcc_lo, v1
	ds_load_b32 v85, v3 offset:40
	v_add_nc_u32_e32 v87, 40, v3
	; wave barrier
	v_and_b32_e32 v0, v0, v1
	v_mbcnt_lo_u32_b32 v86, v0, 0
	v_cmp_ne_u32_e64 s12, 0, v0
	s_delay_alu instid0(VALU_DEP_2) | instskip(NEXT) | instid1(VALU_DEP_2)
	v_cmp_eq_u32_e32 vcc_lo, 0, v86
	s_and_b32 s21, s12, vcc_lo
	s_delay_alu instid0(SALU_CYCLE_1)
	s_and_saveexec_b32 s12, s21
	s_cbranch_execz .LBB41_18
; %bb.17:                               ;   in Loop: Header=BB41_6 Depth=2
	s_waitcnt lgkmcnt(0)
	v_bcnt_u32_b32 v0, v0, v85
	ds_store_b32 v87, v0
.LBB41_18:                              ;   in Loop: Header=BB41_6 Depth=2
	s_or_b32 exec_lo, exec_lo, s12
	v_bfe_u32 v0, v66, s20, 1
	v_lshrrev_b32_e32 v1, s20, v66
	; wave barrier
	s_delay_alu instid0(VALU_DEP_2) | instskip(NEXT) | instid1(VALU_DEP_1)
	v_add_co_u32 v0, s12, v0, -1
	v_cndmask_b32_e64 v2, 0, 1, s12
	s_delay_alu instid0(VALU_DEP_3)
	v_lshlrev_b32_e32 v3, 30, v1
	v_lshlrev_b32_e32 v4, 29, v1
	;; [unrolled: 1-line block ×4, first 2 shown]
	v_cmp_ne_u32_e32 vcc_lo, 0, v2
	v_not_b32_e32 v2, v3
	v_cmp_gt_i32_e64 s12, 0, v3
	v_not_b32_e32 v3, v4
	v_lshlrev_b32_e32 v7, 26, v1
	v_xor_b32_e32 v0, vcc_lo, v0
	v_ashrrev_i32_e32 v2, 31, v2
	v_cmp_gt_i32_e32 vcc_lo, 0, v4
	v_not_b32_e32 v4, v5
	v_ashrrev_i32_e32 v3, 31, v3
	v_and_b32_e32 v0, exec_lo, v0
	v_xor_b32_e32 v2, s12, v2
	v_cmp_gt_i32_e64 s12, 0, v5
	v_not_b32_e32 v5, v6
	v_ashrrev_i32_e32 v4, 31, v4
	v_xor_b32_e32 v3, vcc_lo, v3
	v_and_b32_e32 v0, v0, v2
	v_cmp_gt_i32_e32 vcc_lo, 0, v6
	v_not_b32_e32 v2, v7
	v_ashrrev_i32_e32 v5, 31, v5
	v_xor_b32_e32 v4, s12, v4
	v_and_b32_e32 v0, v0, v3
	v_lshlrev_b32_e32 v3, 25, v1
	v_cmp_gt_i32_e64 s12, 0, v7
	v_ashrrev_i32_e32 v2, 31, v2
	v_xor_b32_e32 v5, vcc_lo, v5
	v_and_b32_e32 v0, v0, v4
	v_not_b32_e32 v6, v3
	v_lshlrev_b32_e32 v1, 24, v1
	v_bfe_u32 v4, v66, s20, 8
	v_xor_b32_e32 v2, s12, v2
	v_and_b32_e32 v0, v0, v5
	v_cmp_gt_i32_e32 vcc_lo, 0, v3
	v_ashrrev_i32_e32 v3, 31, v6
	v_not_b32_e32 v5, v1
	v_mul_u32_u24_e32 v4, 10, v4
	v_and_b32_e32 v0, v0, v2
	s_delay_alu instid0(VALU_DEP_4) | instskip(SKIP_3) | instid1(VALU_DEP_4)
	v_xor_b32_e32 v2, vcc_lo, v3
	v_cmp_gt_i32_e32 vcc_lo, 0, v1
	v_ashrrev_i32_e32 v1, 31, v5
	v_add_lshl_u32 v3, v4, v61, 2
	v_and_b32_e32 v0, v0, v2
	s_delay_alu instid0(VALU_DEP_3) | instskip(SKIP_3) | instid1(VALU_DEP_1)
	v_xor_b32_e32 v1, vcc_lo, v1
	ds_load_b32 v88, v3 offset:40
	v_add_nc_u32_e32 v90, 40, v3
	; wave barrier
	v_and_b32_e32 v0, v0, v1
	v_mbcnt_lo_u32_b32 v89, v0, 0
	v_cmp_ne_u32_e64 s12, 0, v0
	s_delay_alu instid0(VALU_DEP_2) | instskip(NEXT) | instid1(VALU_DEP_2)
	v_cmp_eq_u32_e32 vcc_lo, 0, v89
	s_and_b32 s21, s12, vcc_lo
	s_delay_alu instid0(SALU_CYCLE_1)
	s_and_saveexec_b32 s12, s21
	s_cbranch_execz .LBB41_20
; %bb.19:                               ;   in Loop: Header=BB41_6 Depth=2
	s_waitcnt lgkmcnt(0)
	v_bcnt_u32_b32 v0, v0, v88
	ds_store_b32 v90, v0
.LBB41_20:                              ;   in Loop: Header=BB41_6 Depth=2
	s_or_b32 exec_lo, exec_lo, s12
	v_bfe_u32 v0, v67, s20, 1
	v_lshrrev_b32_e32 v1, s20, v67
	; wave barrier
	s_delay_alu instid0(VALU_DEP_2) | instskip(NEXT) | instid1(VALU_DEP_1)
	v_add_co_u32 v0, s12, v0, -1
	v_cndmask_b32_e64 v2, 0, 1, s12
	s_delay_alu instid0(VALU_DEP_3)
	v_lshlrev_b32_e32 v3, 30, v1
	v_lshlrev_b32_e32 v4, 29, v1
	;; [unrolled: 1-line block ×4, first 2 shown]
	v_cmp_ne_u32_e32 vcc_lo, 0, v2
	v_not_b32_e32 v2, v3
	v_cmp_gt_i32_e64 s12, 0, v3
	v_not_b32_e32 v3, v4
	v_lshlrev_b32_e32 v7, 26, v1
	v_xor_b32_e32 v0, vcc_lo, v0
	v_ashrrev_i32_e32 v2, 31, v2
	v_cmp_gt_i32_e32 vcc_lo, 0, v4
	v_not_b32_e32 v4, v5
	v_ashrrev_i32_e32 v3, 31, v3
	v_and_b32_e32 v0, exec_lo, v0
	v_xor_b32_e32 v2, s12, v2
	v_cmp_gt_i32_e64 s12, 0, v5
	v_not_b32_e32 v5, v6
	v_ashrrev_i32_e32 v4, 31, v4
	v_xor_b32_e32 v3, vcc_lo, v3
	v_and_b32_e32 v0, v0, v2
	v_cmp_gt_i32_e32 vcc_lo, 0, v6
	v_not_b32_e32 v2, v7
	v_ashrrev_i32_e32 v5, 31, v5
	v_xor_b32_e32 v4, s12, v4
	v_and_b32_e32 v0, v0, v3
	v_lshlrev_b32_e32 v3, 25, v1
	v_cmp_gt_i32_e64 s12, 0, v7
	v_ashrrev_i32_e32 v2, 31, v2
	v_xor_b32_e32 v5, vcc_lo, v5
	v_and_b32_e32 v0, v0, v4
	v_not_b32_e32 v6, v3
	v_lshlrev_b32_e32 v1, 24, v1
	v_bfe_u32 v4, v67, s20, 8
	v_xor_b32_e32 v2, s12, v2
	v_and_b32_e32 v0, v0, v5
	v_cmp_gt_i32_e32 vcc_lo, 0, v3
	v_ashrrev_i32_e32 v3, 31, v6
	v_not_b32_e32 v5, v1
	v_mul_u32_u24_e32 v4, 10, v4
	v_and_b32_e32 v0, v0, v2
	s_delay_alu instid0(VALU_DEP_4) | instskip(SKIP_3) | instid1(VALU_DEP_4)
	v_xor_b32_e32 v2, vcc_lo, v3
	v_cmp_gt_i32_e32 vcc_lo, 0, v1
	v_ashrrev_i32_e32 v1, 31, v5
	v_add_lshl_u32 v3, v4, v61, 2
	v_and_b32_e32 v0, v0, v2
	s_delay_alu instid0(VALU_DEP_3) | instskip(SKIP_3) | instid1(VALU_DEP_1)
	v_xor_b32_e32 v1, vcc_lo, v1
	ds_load_b32 v91, v3 offset:40
	v_add_nc_u32_e32 v93, 40, v3
	; wave barrier
	v_and_b32_e32 v0, v0, v1
	v_mbcnt_lo_u32_b32 v92, v0, 0
	v_cmp_ne_u32_e64 s12, 0, v0
	s_delay_alu instid0(VALU_DEP_2) | instskip(NEXT) | instid1(VALU_DEP_2)
	v_cmp_eq_u32_e32 vcc_lo, 0, v92
	s_and_b32 s21, s12, vcc_lo
	s_delay_alu instid0(SALU_CYCLE_1)
	s_and_saveexec_b32 s12, s21
	s_cbranch_execz .LBB41_22
; %bb.21:                               ;   in Loop: Header=BB41_6 Depth=2
	s_waitcnt lgkmcnt(0)
	v_bcnt_u32_b32 v0, v0, v91
	ds_store_b32 v93, v0
.LBB41_22:                              ;   in Loop: Header=BB41_6 Depth=2
	s_or_b32 exec_lo, exec_lo, s12
	v_bfe_u32 v0, v68, s20, 1
	v_lshrrev_b32_e32 v1, s20, v68
	; wave barrier
	s_delay_alu instid0(VALU_DEP_2) | instskip(NEXT) | instid1(VALU_DEP_1)
	v_add_co_u32 v0, s12, v0, -1
	v_cndmask_b32_e64 v2, 0, 1, s12
	s_delay_alu instid0(VALU_DEP_3)
	v_lshlrev_b32_e32 v3, 30, v1
	v_lshlrev_b32_e32 v4, 29, v1
	;; [unrolled: 1-line block ×4, first 2 shown]
	v_cmp_ne_u32_e32 vcc_lo, 0, v2
	v_not_b32_e32 v2, v3
	v_cmp_gt_i32_e64 s12, 0, v3
	v_not_b32_e32 v3, v4
	v_lshlrev_b32_e32 v7, 26, v1
	v_xor_b32_e32 v0, vcc_lo, v0
	v_ashrrev_i32_e32 v2, 31, v2
	v_cmp_gt_i32_e32 vcc_lo, 0, v4
	v_not_b32_e32 v4, v5
	v_ashrrev_i32_e32 v3, 31, v3
	v_and_b32_e32 v0, exec_lo, v0
	v_xor_b32_e32 v2, s12, v2
	v_cmp_gt_i32_e64 s12, 0, v5
	v_not_b32_e32 v5, v6
	v_ashrrev_i32_e32 v4, 31, v4
	v_xor_b32_e32 v3, vcc_lo, v3
	v_and_b32_e32 v0, v0, v2
	v_cmp_gt_i32_e32 vcc_lo, 0, v6
	v_not_b32_e32 v2, v7
	v_ashrrev_i32_e32 v5, 31, v5
	v_xor_b32_e32 v4, s12, v4
	v_and_b32_e32 v0, v0, v3
	v_lshlrev_b32_e32 v3, 25, v1
	v_cmp_gt_i32_e64 s12, 0, v7
	v_ashrrev_i32_e32 v2, 31, v2
	v_xor_b32_e32 v5, vcc_lo, v5
	v_and_b32_e32 v0, v0, v4
	v_not_b32_e32 v6, v3
	v_lshlrev_b32_e32 v1, 24, v1
	v_bfe_u32 v4, v68, s20, 8
	v_xor_b32_e32 v2, s12, v2
	v_and_b32_e32 v0, v0, v5
	v_cmp_gt_i32_e32 vcc_lo, 0, v3
	v_ashrrev_i32_e32 v3, 31, v6
	v_not_b32_e32 v5, v1
	v_mul_u32_u24_e32 v4, 10, v4
	v_and_b32_e32 v0, v0, v2
	s_delay_alu instid0(VALU_DEP_4) | instskip(SKIP_3) | instid1(VALU_DEP_4)
	v_xor_b32_e32 v2, vcc_lo, v3
	v_cmp_gt_i32_e32 vcc_lo, 0, v1
	v_ashrrev_i32_e32 v1, 31, v5
	v_add_lshl_u32 v3, v4, v61, 2
	v_and_b32_e32 v0, v0, v2
	s_delay_alu instid0(VALU_DEP_3) | instskip(SKIP_3) | instid1(VALU_DEP_1)
	v_xor_b32_e32 v1, vcc_lo, v1
	ds_load_b32 v94, v3 offset:40
	v_add_nc_u32_e32 v97, 40, v3
	; wave barrier
	v_and_b32_e32 v0, v0, v1
	v_mbcnt_lo_u32_b32 v95, v0, 0
	v_cmp_ne_u32_e64 s12, 0, v0
	s_delay_alu instid0(VALU_DEP_2) | instskip(NEXT) | instid1(VALU_DEP_2)
	v_cmp_eq_u32_e32 vcc_lo, 0, v95
	s_and_b32 s21, s12, vcc_lo
	s_delay_alu instid0(SALU_CYCLE_1)
	s_and_saveexec_b32 s12, s21
	s_cbranch_execz .LBB41_24
; %bb.23:                               ;   in Loop: Header=BB41_6 Depth=2
	s_waitcnt lgkmcnt(0)
	v_bcnt_u32_b32 v0, v0, v94
	ds_store_b32 v97, v0
.LBB41_24:                              ;   in Loop: Header=BB41_6 Depth=2
	s_or_b32 exec_lo, exec_lo, s12
	v_bfe_u32 v1, v70, s20, 8
	; wave barrier
	v_lshrrev_b32_e32 v0, s20, v70
	s_delay_alu instid0(VALU_DEP_2) | instskip(NEXT) | instid1(VALU_DEP_1)
	v_mul_u32_u24_e32 v1, 10, v1
	v_add_lshl_u32 v1, v1, v61, 2
	s_delay_alu instid0(VALU_DEP_1) | instskip(SKIP_2) | instid1(VALU_DEP_1)
	v_add_nc_u32_e32 v98, 40, v1
	ds_load_b32 v96, v1 offset:40
	v_bfe_u32 v1, v70, s20, 1
	; wave barrier
	v_add_co_u32 v1, s12, v1, -1
	s_delay_alu instid0(VALU_DEP_1) | instskip(NEXT) | instid1(VALU_DEP_1)
	v_cndmask_b32_e64 v2, 0, 1, s12
	v_cmp_ne_u32_e32 vcc_lo, 0, v2
	v_lshlrev_b32_e32 v2, 30, v0
	s_delay_alu instid0(VALU_DEP_4) | instskip(NEXT) | instid1(VALU_DEP_2)
	v_xor_b32_e32 v1, vcc_lo, v1
	v_cmp_gt_i32_e32 vcc_lo, 0, v2
	v_not_b32_e32 v2, v2
	s_delay_alu instid0(VALU_DEP_3) | instskip(NEXT) | instid1(VALU_DEP_2)
	v_and_b32_e32 v1, exec_lo, v1
	v_ashrrev_i32_e32 v2, 31, v2
	s_delay_alu instid0(VALU_DEP_1) | instskip(NEXT) | instid1(VALU_DEP_1)
	v_xor_b32_e32 v2, vcc_lo, v2
	v_and_b32_e32 v1, v1, v2
	v_lshlrev_b32_e32 v2, 29, v0
	s_delay_alu instid0(VALU_DEP_1) | instskip(SKIP_1) | instid1(VALU_DEP_1)
	v_cmp_gt_i32_e32 vcc_lo, 0, v2
	v_not_b32_e32 v2, v2
	v_ashrrev_i32_e32 v2, 31, v2
	s_delay_alu instid0(VALU_DEP_1) | instskip(NEXT) | instid1(VALU_DEP_1)
	v_xor_b32_e32 v2, vcc_lo, v2
	v_and_b32_e32 v1, v1, v2
	v_lshlrev_b32_e32 v2, 28, v0
	s_delay_alu instid0(VALU_DEP_1) | instskip(SKIP_1) | instid1(VALU_DEP_1)
	v_cmp_gt_i32_e32 vcc_lo, 0, v2
	v_not_b32_e32 v2, v2
	;; [unrolled: 8-line block ×4, first 2 shown]
	v_ashrrev_i32_e32 v2, 31, v2
	s_delay_alu instid0(VALU_DEP_1) | instskip(NEXT) | instid1(VALU_DEP_1)
	v_xor_b32_e32 v2, vcc_lo, v2
	v_and_b32_e32 v1, v1, v2
	v_lshlrev_b32_e32 v2, 25, v0
	v_lshlrev_b32_e32 v0, 24, v0
	s_delay_alu instid0(VALU_DEP_2) | instskip(SKIP_1) | instid1(VALU_DEP_1)
	v_cmp_gt_i32_e32 vcc_lo, 0, v2
	v_not_b32_e32 v2, v2
	v_ashrrev_i32_e32 v2, 31, v2
	s_delay_alu instid0(VALU_DEP_1) | instskip(SKIP_2) | instid1(VALU_DEP_3)
	v_xor_b32_e32 v2, vcc_lo, v2
	v_cmp_gt_i32_e32 vcc_lo, 0, v0
	v_not_b32_e32 v0, v0
	v_and_b32_e32 v1, v1, v2
	s_delay_alu instid0(VALU_DEP_2) | instskip(NEXT) | instid1(VALU_DEP_1)
	v_ashrrev_i32_e32 v0, 31, v0
	v_xor_b32_e32 v0, vcc_lo, v0
	s_delay_alu instid0(VALU_DEP_1) | instskip(NEXT) | instid1(VALU_DEP_1)
	v_and_b32_e32 v0, v1, v0
	v_mbcnt_lo_u32_b32 v99, v0, 0
	v_cmp_ne_u32_e64 s12, 0, v0
	s_delay_alu instid0(VALU_DEP_2) | instskip(NEXT) | instid1(VALU_DEP_2)
	v_cmp_eq_u32_e32 vcc_lo, 0, v99
	s_and_b32 s21, s12, vcc_lo
	s_delay_alu instid0(SALU_CYCLE_1)
	s_and_saveexec_b32 s12, s21
	s_cbranch_execz .LBB41_26
; %bb.25:                               ;   in Loop: Header=BB41_6 Depth=2
	s_waitcnt lgkmcnt(0)
	v_bcnt_u32_b32 v0, v0, v96
	ds_store_b32 v98, v0
.LBB41_26:                              ;   in Loop: Header=BB41_6 Depth=2
	s_or_b32 exec_lo, exec_lo, s12
	v_bfe_u32 v0, v69, s20, 1
	v_lshrrev_b32_e32 v1, s20, v69
	; wave barrier
	s_delay_alu instid0(VALU_DEP_2) | instskip(NEXT) | instid1(VALU_DEP_1)
	v_add_co_u32 v0, s12, v0, -1
	v_cndmask_b32_e64 v2, 0, 1, s12
	s_delay_alu instid0(VALU_DEP_3)
	v_lshlrev_b32_e32 v3, 30, v1
	v_lshlrev_b32_e32 v4, 29, v1
	;; [unrolled: 1-line block ×4, first 2 shown]
	v_cmp_ne_u32_e32 vcc_lo, 0, v2
	v_not_b32_e32 v2, v3
	v_cmp_gt_i32_e64 s12, 0, v3
	v_not_b32_e32 v3, v4
	v_lshlrev_b32_e32 v7, 26, v1
	v_xor_b32_e32 v0, vcc_lo, v0
	v_ashrrev_i32_e32 v2, 31, v2
	v_cmp_gt_i32_e32 vcc_lo, 0, v4
	v_not_b32_e32 v4, v5
	v_ashrrev_i32_e32 v3, 31, v3
	v_and_b32_e32 v0, exec_lo, v0
	v_xor_b32_e32 v2, s12, v2
	v_cmp_gt_i32_e64 s12, 0, v5
	v_not_b32_e32 v5, v6
	v_ashrrev_i32_e32 v4, 31, v4
	v_xor_b32_e32 v3, vcc_lo, v3
	v_and_b32_e32 v0, v0, v2
	v_cmp_gt_i32_e32 vcc_lo, 0, v6
	v_not_b32_e32 v2, v7
	v_ashrrev_i32_e32 v5, 31, v5
	v_xor_b32_e32 v4, s12, v4
	v_and_b32_e32 v0, v0, v3
	v_lshlrev_b32_e32 v3, 25, v1
	v_cmp_gt_i32_e64 s12, 0, v7
	v_ashrrev_i32_e32 v2, 31, v2
	v_xor_b32_e32 v5, vcc_lo, v5
	v_and_b32_e32 v0, v0, v4
	v_not_b32_e32 v6, v3
	v_lshlrev_b32_e32 v1, 24, v1
	v_bfe_u32 v4, v69, s20, 8
	v_xor_b32_e32 v2, s12, v2
	v_and_b32_e32 v0, v0, v5
	v_cmp_gt_i32_e32 vcc_lo, 0, v3
	v_ashrrev_i32_e32 v3, 31, v6
	v_not_b32_e32 v5, v1
	v_mul_u32_u24_e32 v4, 10, v4
	v_and_b32_e32 v0, v0, v2
	s_delay_alu instid0(VALU_DEP_4) | instskip(SKIP_3) | instid1(VALU_DEP_4)
	v_xor_b32_e32 v2, vcc_lo, v3
	v_cmp_gt_i32_e32 vcc_lo, 0, v1
	v_ashrrev_i32_e32 v1, 31, v5
	v_add_lshl_u32 v3, v4, v61, 2
	v_and_b32_e32 v0, v0, v2
	s_delay_alu instid0(VALU_DEP_3) | instskip(SKIP_3) | instid1(VALU_DEP_1)
	v_xor_b32_e32 v1, vcc_lo, v1
	ds_load_b32 v100, v3 offset:40
	v_add_nc_u32_e32 v102, 40, v3
	; wave barrier
	v_and_b32_e32 v0, v0, v1
	v_mbcnt_lo_u32_b32 v101, v0, 0
	v_cmp_ne_u32_e64 s12, 0, v0
	s_delay_alu instid0(VALU_DEP_2) | instskip(NEXT) | instid1(VALU_DEP_2)
	v_cmp_eq_u32_e32 vcc_lo, 0, v101
	s_and_b32 s21, s12, vcc_lo
	s_delay_alu instid0(SALU_CYCLE_1)
	s_and_saveexec_b32 s12, s21
	s_cbranch_execz .LBB41_28
; %bb.27:                               ;   in Loop: Header=BB41_6 Depth=2
	s_waitcnt lgkmcnt(0)
	v_bcnt_u32_b32 v0, v0, v100
	ds_store_b32 v102, v0
.LBB41_28:                              ;   in Loop: Header=BB41_6 Depth=2
	s_or_b32 exec_lo, exec_lo, s12
	v_bfe_u32 v0, v17, s20, 1
	v_lshrrev_b32_e32 v1, s20, v17
	; wave barrier
	s_delay_alu instid0(VALU_DEP_2) | instskip(NEXT) | instid1(VALU_DEP_1)
	v_add_co_u32 v0, s12, v0, -1
	v_cndmask_b32_e64 v2, 0, 1, s12
	s_delay_alu instid0(VALU_DEP_3)
	v_lshlrev_b32_e32 v3, 30, v1
	v_lshlrev_b32_e32 v4, 29, v1
	;; [unrolled: 1-line block ×4, first 2 shown]
	v_cmp_ne_u32_e32 vcc_lo, 0, v2
	v_not_b32_e32 v2, v3
	v_cmp_gt_i32_e64 s12, 0, v3
	v_not_b32_e32 v3, v4
	v_lshlrev_b32_e32 v7, 26, v1
	v_xor_b32_e32 v0, vcc_lo, v0
	v_ashrrev_i32_e32 v2, 31, v2
	v_cmp_gt_i32_e32 vcc_lo, 0, v4
	v_not_b32_e32 v4, v5
	v_ashrrev_i32_e32 v3, 31, v3
	v_and_b32_e32 v0, exec_lo, v0
	v_xor_b32_e32 v2, s12, v2
	v_cmp_gt_i32_e64 s12, 0, v5
	v_not_b32_e32 v5, v6
	v_ashrrev_i32_e32 v4, 31, v4
	v_xor_b32_e32 v3, vcc_lo, v3
	v_and_b32_e32 v0, v0, v2
	v_cmp_gt_i32_e32 vcc_lo, 0, v6
	v_not_b32_e32 v2, v7
	v_ashrrev_i32_e32 v5, 31, v5
	v_xor_b32_e32 v4, s12, v4
	v_and_b32_e32 v0, v0, v3
	v_lshlrev_b32_e32 v3, 25, v1
	v_cmp_gt_i32_e64 s12, 0, v7
	v_ashrrev_i32_e32 v2, 31, v2
	v_xor_b32_e32 v5, vcc_lo, v5
	v_and_b32_e32 v0, v0, v4
	v_not_b32_e32 v6, v3
	v_lshlrev_b32_e32 v1, 24, v1
	v_bfe_u32 v4, v17, s20, 8
	v_xor_b32_e32 v2, s12, v2
	v_and_b32_e32 v0, v0, v5
	v_cmp_gt_i32_e32 vcc_lo, 0, v3
	v_ashrrev_i32_e32 v3, 31, v6
	v_not_b32_e32 v5, v1
	v_mul_u32_u24_e32 v4, 10, v4
	v_and_b32_e32 v0, v0, v2
	s_delay_alu instid0(VALU_DEP_4) | instskip(SKIP_3) | instid1(VALU_DEP_4)
	v_xor_b32_e32 v2, vcc_lo, v3
	v_cmp_gt_i32_e32 vcc_lo, 0, v1
	v_ashrrev_i32_e32 v1, 31, v5
	v_add_lshl_u32 v3, v4, v61, 2
	v_and_b32_e32 v0, v0, v2
	s_delay_alu instid0(VALU_DEP_3) | instskip(SKIP_3) | instid1(VALU_DEP_1)
	v_xor_b32_e32 v1, vcc_lo, v1
	ds_load_b32 v103, v3 offset:40
	v_add_nc_u32_e32 v105, 40, v3
	; wave barrier
	v_and_b32_e32 v0, v0, v1
	v_mbcnt_lo_u32_b32 v104, v0, 0
	v_cmp_ne_u32_e64 s12, 0, v0
	s_delay_alu instid0(VALU_DEP_2) | instskip(NEXT) | instid1(VALU_DEP_2)
	v_cmp_eq_u32_e32 vcc_lo, 0, v104
	s_and_b32 s21, s12, vcc_lo
	s_delay_alu instid0(SALU_CYCLE_1)
	s_and_saveexec_b32 s12, s21
	s_cbranch_execz .LBB41_30
; %bb.29:                               ;   in Loop: Header=BB41_6 Depth=2
	s_waitcnt lgkmcnt(0)
	v_bcnt_u32_b32 v0, v0, v103
	ds_store_b32 v105, v0
.LBB41_30:                              ;   in Loop: Header=BB41_6 Depth=2
	s_or_b32 exec_lo, exec_lo, s12
	v_bfe_u32 v0, v64, s20, 1
	v_lshrrev_b32_e32 v1, s20, v64
	; wave barrier
	s_delay_alu instid0(VALU_DEP_2) | instskip(NEXT) | instid1(VALU_DEP_1)
	v_add_co_u32 v0, s12, v0, -1
	v_cndmask_b32_e64 v2, 0, 1, s12
	s_delay_alu instid0(VALU_DEP_3)
	v_lshlrev_b32_e32 v3, 30, v1
	v_lshlrev_b32_e32 v4, 29, v1
	;; [unrolled: 1-line block ×4, first 2 shown]
	v_cmp_ne_u32_e32 vcc_lo, 0, v2
	v_not_b32_e32 v2, v3
	v_cmp_gt_i32_e64 s12, 0, v3
	v_not_b32_e32 v3, v4
	v_lshlrev_b32_e32 v7, 26, v1
	v_xor_b32_e32 v0, vcc_lo, v0
	v_ashrrev_i32_e32 v2, 31, v2
	v_cmp_gt_i32_e32 vcc_lo, 0, v4
	v_not_b32_e32 v4, v5
	v_ashrrev_i32_e32 v3, 31, v3
	v_and_b32_e32 v0, exec_lo, v0
	v_xor_b32_e32 v2, s12, v2
	v_cmp_gt_i32_e64 s12, 0, v5
	v_not_b32_e32 v5, v6
	v_ashrrev_i32_e32 v4, 31, v4
	v_xor_b32_e32 v3, vcc_lo, v3
	v_and_b32_e32 v0, v0, v2
	v_cmp_gt_i32_e32 vcc_lo, 0, v6
	v_not_b32_e32 v2, v7
	v_ashrrev_i32_e32 v5, 31, v5
	v_xor_b32_e32 v4, s12, v4
	v_and_b32_e32 v0, v0, v3
	v_lshlrev_b32_e32 v3, 25, v1
	v_cmp_gt_i32_e64 s12, 0, v7
	v_ashrrev_i32_e32 v2, 31, v2
	v_xor_b32_e32 v5, vcc_lo, v5
	v_and_b32_e32 v0, v0, v4
	v_not_b32_e32 v6, v3
	v_lshlrev_b32_e32 v1, 24, v1
	v_bfe_u32 v4, v64, s20, 8
	v_xor_b32_e32 v2, s12, v2
	v_and_b32_e32 v0, v0, v5
	v_cmp_gt_i32_e32 vcc_lo, 0, v3
	v_ashrrev_i32_e32 v3, 31, v6
	v_not_b32_e32 v5, v1
	v_mul_u32_u24_e32 v4, 10, v4
	v_and_b32_e32 v0, v0, v2
	s_delay_alu instid0(VALU_DEP_4) | instskip(SKIP_3) | instid1(VALU_DEP_4)
	v_xor_b32_e32 v2, vcc_lo, v3
	v_cmp_gt_i32_e32 vcc_lo, 0, v1
	v_ashrrev_i32_e32 v1, 31, v5
	v_add_lshl_u32 v3, v4, v61, 2
	v_and_b32_e32 v0, v0, v2
	s_delay_alu instid0(VALU_DEP_3) | instskip(SKIP_3) | instid1(VALU_DEP_1)
	v_xor_b32_e32 v1, vcc_lo, v1
	ds_load_b32 v106, v3 offset:40
	v_add_nc_u32_e32 v108, 40, v3
	; wave barrier
	v_and_b32_e32 v0, v0, v1
	v_mbcnt_lo_u32_b32 v107, v0, 0
	v_cmp_ne_u32_e64 s12, 0, v0
	s_delay_alu instid0(VALU_DEP_2) | instskip(NEXT) | instid1(VALU_DEP_2)
	v_cmp_eq_u32_e32 vcc_lo, 0, v107
	s_and_b32 s21, s12, vcc_lo
	s_delay_alu instid0(SALU_CYCLE_1)
	s_and_saveexec_b32 s12, s21
	s_cbranch_execz .LBB41_32
; %bb.31:                               ;   in Loop: Header=BB41_6 Depth=2
	s_waitcnt lgkmcnt(0)
	v_bcnt_u32_b32 v0, v0, v106
	ds_store_b32 v108, v0
.LBB41_32:                              ;   in Loop: Header=BB41_6 Depth=2
	s_or_b32 exec_lo, exec_lo, s12
	v_bfe_u32 v0, v63, s20, 1
	v_lshrrev_b32_e32 v1, s20, v63
	; wave barrier
	s_delay_alu instid0(VALU_DEP_2) | instskip(NEXT) | instid1(VALU_DEP_1)
	v_add_co_u32 v0, s12, v0, -1
	v_cndmask_b32_e64 v2, 0, 1, s12
	s_delay_alu instid0(VALU_DEP_3)
	v_lshlrev_b32_e32 v3, 30, v1
	v_lshlrev_b32_e32 v4, 29, v1
	v_lshlrev_b32_e32 v5, 28, v1
	v_lshlrev_b32_e32 v6, 27, v1
	v_cmp_ne_u32_e32 vcc_lo, 0, v2
	v_not_b32_e32 v2, v3
	v_cmp_gt_i32_e64 s12, 0, v3
	v_not_b32_e32 v3, v4
	v_lshlrev_b32_e32 v7, 26, v1
	v_xor_b32_e32 v0, vcc_lo, v0
	v_ashrrev_i32_e32 v2, 31, v2
	v_cmp_gt_i32_e32 vcc_lo, 0, v4
	v_not_b32_e32 v4, v5
	v_ashrrev_i32_e32 v3, 31, v3
	v_and_b32_e32 v0, exec_lo, v0
	v_xor_b32_e32 v2, s12, v2
	v_cmp_gt_i32_e64 s12, 0, v5
	v_not_b32_e32 v5, v6
	v_ashrrev_i32_e32 v4, 31, v4
	v_xor_b32_e32 v3, vcc_lo, v3
	v_and_b32_e32 v0, v0, v2
	v_cmp_gt_i32_e32 vcc_lo, 0, v6
	v_not_b32_e32 v2, v7
	v_ashrrev_i32_e32 v5, 31, v5
	v_xor_b32_e32 v4, s12, v4
	v_and_b32_e32 v0, v0, v3
	v_lshlrev_b32_e32 v3, 25, v1
	v_cmp_gt_i32_e64 s12, 0, v7
	v_ashrrev_i32_e32 v2, 31, v2
	v_xor_b32_e32 v5, vcc_lo, v5
	v_and_b32_e32 v0, v0, v4
	v_not_b32_e32 v6, v3
	v_lshlrev_b32_e32 v1, 24, v1
	v_bfe_u32 v4, v63, s20, 8
	v_xor_b32_e32 v2, s12, v2
	v_and_b32_e32 v0, v0, v5
	v_cmp_gt_i32_e32 vcc_lo, 0, v3
	v_ashrrev_i32_e32 v3, 31, v6
	v_not_b32_e32 v5, v1
	v_mul_u32_u24_e32 v4, 10, v4
	v_and_b32_e32 v0, v0, v2
	s_delay_alu instid0(VALU_DEP_4) | instskip(SKIP_3) | instid1(VALU_DEP_4)
	v_xor_b32_e32 v2, vcc_lo, v3
	v_cmp_gt_i32_e32 vcc_lo, 0, v1
	v_ashrrev_i32_e32 v1, 31, v5
	v_add_lshl_u32 v3, v4, v61, 2
	v_and_b32_e32 v0, v0, v2
	s_delay_alu instid0(VALU_DEP_3) | instskip(SKIP_3) | instid1(VALU_DEP_1)
	v_xor_b32_e32 v1, vcc_lo, v1
	ds_load_b32 v109, v3 offset:40
	v_add_nc_u32_e32 v111, 40, v3
	; wave barrier
	v_and_b32_e32 v0, v0, v1
	v_mbcnt_lo_u32_b32 v110, v0, 0
	v_cmp_ne_u32_e64 s12, 0, v0
	s_delay_alu instid0(VALU_DEP_2) | instskip(NEXT) | instid1(VALU_DEP_2)
	v_cmp_eq_u32_e32 vcc_lo, 0, v110
	s_and_b32 s21, s12, vcc_lo
	s_delay_alu instid0(SALU_CYCLE_1)
	s_and_saveexec_b32 s12, s21
	s_cbranch_execz .LBB41_34
; %bb.33:                               ;   in Loop: Header=BB41_6 Depth=2
	s_waitcnt lgkmcnt(0)
	v_bcnt_u32_b32 v0, v0, v109
	ds_store_b32 v111, v0
.LBB41_34:                              ;   in Loop: Header=BB41_6 Depth=2
	s_or_b32 exec_lo, exec_lo, s12
	v_bfe_u32 v0, v18, s20, 1
	v_lshrrev_b32_e32 v1, s20, v18
	; wave barrier
	s_delay_alu instid0(VALU_DEP_2) | instskip(NEXT) | instid1(VALU_DEP_1)
	v_add_co_u32 v0, s12, v0, -1
	v_cndmask_b32_e64 v2, 0, 1, s12
	s_delay_alu instid0(VALU_DEP_3)
	v_lshlrev_b32_e32 v3, 30, v1
	v_lshlrev_b32_e32 v4, 29, v1
	;; [unrolled: 1-line block ×4, first 2 shown]
	v_cmp_ne_u32_e32 vcc_lo, 0, v2
	v_not_b32_e32 v2, v3
	v_cmp_gt_i32_e64 s12, 0, v3
	v_not_b32_e32 v3, v4
	v_lshlrev_b32_e32 v7, 26, v1
	v_xor_b32_e32 v0, vcc_lo, v0
	v_ashrrev_i32_e32 v2, 31, v2
	v_cmp_gt_i32_e32 vcc_lo, 0, v4
	v_not_b32_e32 v4, v5
	v_ashrrev_i32_e32 v3, 31, v3
	v_and_b32_e32 v0, exec_lo, v0
	v_xor_b32_e32 v2, s12, v2
	v_cmp_gt_i32_e64 s12, 0, v5
	v_not_b32_e32 v5, v6
	v_ashrrev_i32_e32 v4, 31, v4
	v_xor_b32_e32 v3, vcc_lo, v3
	v_and_b32_e32 v0, v0, v2
	v_cmp_gt_i32_e32 vcc_lo, 0, v6
	v_not_b32_e32 v2, v7
	v_ashrrev_i32_e32 v5, 31, v5
	v_xor_b32_e32 v4, s12, v4
	v_and_b32_e32 v0, v0, v3
	v_lshlrev_b32_e32 v3, 25, v1
	v_cmp_gt_i32_e64 s12, 0, v7
	v_ashrrev_i32_e32 v2, 31, v2
	v_xor_b32_e32 v5, vcc_lo, v5
	v_and_b32_e32 v0, v0, v4
	v_not_b32_e32 v6, v3
	v_lshlrev_b32_e32 v1, 24, v1
	v_bfe_u32 v4, v18, s20, 8
	v_xor_b32_e32 v2, s12, v2
	v_and_b32_e32 v0, v0, v5
	v_cmp_gt_i32_e32 vcc_lo, 0, v3
	v_ashrrev_i32_e32 v3, 31, v6
	v_not_b32_e32 v5, v1
	v_mul_u32_u24_e32 v4, 10, v4
	v_and_b32_e32 v0, v0, v2
	s_delay_alu instid0(VALU_DEP_4) | instskip(SKIP_3) | instid1(VALU_DEP_4)
	v_xor_b32_e32 v2, vcc_lo, v3
	v_cmp_gt_i32_e32 vcc_lo, 0, v1
	v_ashrrev_i32_e32 v1, 31, v5
	v_add_lshl_u32 v3, v4, v61, 2
	v_and_b32_e32 v0, v0, v2
	s_delay_alu instid0(VALU_DEP_3) | instskip(SKIP_3) | instid1(VALU_DEP_1)
	v_xor_b32_e32 v1, vcc_lo, v1
	ds_load_b32 v112, v3 offset:40
	v_add_nc_u32_e32 v114, 40, v3
	; wave barrier
	v_and_b32_e32 v0, v0, v1
	v_mbcnt_lo_u32_b32 v113, v0, 0
	v_cmp_ne_u32_e64 s12, 0, v0
	s_delay_alu instid0(VALU_DEP_2) | instskip(NEXT) | instid1(VALU_DEP_2)
	v_cmp_eq_u32_e32 vcc_lo, 0, v113
	s_and_b32 s21, s12, vcc_lo
	s_delay_alu instid0(SALU_CYCLE_1)
	s_and_saveexec_b32 s12, s21
	s_cbranch_execz .LBB41_36
; %bb.35:                               ;   in Loop: Header=BB41_6 Depth=2
	s_waitcnt lgkmcnt(0)
	v_bcnt_u32_b32 v0, v0, v112
	ds_store_b32 v114, v0
.LBB41_36:                              ;   in Loop: Header=BB41_6 Depth=2
	s_or_b32 exec_lo, exec_lo, s12
	v_bfe_u32 v0, v65, s20, 1
	v_lshrrev_b32_e32 v1, s20, v65
	; wave barrier
	s_delay_alu instid0(VALU_DEP_2) | instskip(NEXT) | instid1(VALU_DEP_1)
	v_add_co_u32 v0, s12, v0, -1
	v_cndmask_b32_e64 v2, 0, 1, s12
	s_delay_alu instid0(VALU_DEP_3)
	v_lshlrev_b32_e32 v3, 30, v1
	v_lshlrev_b32_e32 v4, 29, v1
	;; [unrolled: 1-line block ×4, first 2 shown]
	v_cmp_ne_u32_e32 vcc_lo, 0, v2
	v_not_b32_e32 v2, v3
	v_cmp_gt_i32_e64 s12, 0, v3
	v_not_b32_e32 v3, v4
	v_lshlrev_b32_e32 v7, 26, v1
	v_xor_b32_e32 v0, vcc_lo, v0
	v_ashrrev_i32_e32 v2, 31, v2
	v_cmp_gt_i32_e32 vcc_lo, 0, v4
	v_not_b32_e32 v4, v5
	v_ashrrev_i32_e32 v3, 31, v3
	v_and_b32_e32 v0, exec_lo, v0
	v_xor_b32_e32 v2, s12, v2
	v_cmp_gt_i32_e64 s12, 0, v5
	v_not_b32_e32 v5, v6
	v_ashrrev_i32_e32 v4, 31, v4
	v_xor_b32_e32 v3, vcc_lo, v3
	v_and_b32_e32 v0, v0, v2
	v_cmp_gt_i32_e32 vcc_lo, 0, v6
	v_not_b32_e32 v2, v7
	v_ashrrev_i32_e32 v5, 31, v5
	v_xor_b32_e32 v4, s12, v4
	v_and_b32_e32 v0, v0, v3
	v_lshlrev_b32_e32 v3, 25, v1
	v_cmp_gt_i32_e64 s12, 0, v7
	v_ashrrev_i32_e32 v2, 31, v2
	v_xor_b32_e32 v5, vcc_lo, v5
	v_and_b32_e32 v0, v0, v4
	v_not_b32_e32 v6, v3
	v_lshlrev_b32_e32 v1, 24, v1
	v_bfe_u32 v4, v65, s20, 8
	v_xor_b32_e32 v2, s12, v2
	v_and_b32_e32 v0, v0, v5
	v_cmp_gt_i32_e32 vcc_lo, 0, v3
	v_ashrrev_i32_e32 v3, 31, v6
	v_not_b32_e32 v5, v1
	v_mul_u32_u24_e32 v4, 10, v4
	v_and_b32_e32 v0, v0, v2
	s_delay_alu instid0(VALU_DEP_4) | instskip(SKIP_3) | instid1(VALU_DEP_4)
	v_xor_b32_e32 v2, vcc_lo, v3
	v_cmp_gt_i32_e32 vcc_lo, 0, v1
	v_ashrrev_i32_e32 v1, 31, v5
	v_add_lshl_u32 v3, v4, v61, 2
	v_and_b32_e32 v0, v0, v2
	s_delay_alu instid0(VALU_DEP_3) | instskip(SKIP_3) | instid1(VALU_DEP_1)
	v_xor_b32_e32 v1, vcc_lo, v1
	ds_load_b32 v115, v3 offset:40
	v_add_nc_u32_e32 v117, 40, v3
	; wave barrier
	v_and_b32_e32 v0, v0, v1
	v_mbcnt_lo_u32_b32 v116, v0, 0
	v_cmp_ne_u32_e64 s12, 0, v0
	s_delay_alu instid0(VALU_DEP_2) | instskip(NEXT) | instid1(VALU_DEP_2)
	v_cmp_eq_u32_e32 vcc_lo, 0, v116
	s_and_b32 s21, s12, vcc_lo
	s_delay_alu instid0(SALU_CYCLE_1)
	s_and_saveexec_b32 s12, s21
	s_cbranch_execz .LBB41_38
; %bb.37:                               ;   in Loop: Header=BB41_6 Depth=2
	s_waitcnt lgkmcnt(0)
	v_bcnt_u32_b32 v0, v0, v115
	ds_store_b32 v117, v0
.LBB41_38:                              ;   in Loop: Header=BB41_6 Depth=2
	s_or_b32 exec_lo, exec_lo, s12
	; wave barrier
	s_waitcnt lgkmcnt(0)
	s_barrier
	buffer_gl0_inv
	ds_load_2addr_b64 v[4:7], v19 offset0:5 offset1:6
	ds_load_2addr_b64 v[0:3], v23 offset0:2 offset1:3
	s_waitcnt lgkmcnt(1)
	v_add_nc_u32_e32 v118, v5, v4
	s_delay_alu instid0(VALU_DEP_1) | instskip(SKIP_1) | instid1(VALU_DEP_1)
	v_add3_u32 v118, v118, v6, v7
	s_waitcnt lgkmcnt(0)
	v_add3_u32 v118, v118, v0, v1
	s_delay_alu instid0(VALU_DEP_1) | instskip(NEXT) | instid1(VALU_DEP_1)
	v_add3_u32 v3, v118, v2, v3
	v_mov_b32_dpp v118, v3 row_shr:1 row_mask:0xf bank_mask:0xf
	s_delay_alu instid0(VALU_DEP_1) | instskip(NEXT) | instid1(VALU_DEP_1)
	v_cndmask_b32_e64 v118, v118, 0, s2
	v_add_nc_u32_e32 v3, v118, v3
	s_delay_alu instid0(VALU_DEP_1) | instskip(NEXT) | instid1(VALU_DEP_1)
	v_mov_b32_dpp v118, v3 row_shr:2 row_mask:0xf bank_mask:0xf
	v_cndmask_b32_e64 v118, 0, v118, s3
	s_delay_alu instid0(VALU_DEP_1) | instskip(NEXT) | instid1(VALU_DEP_1)
	v_add_nc_u32_e32 v3, v3, v118
	v_mov_b32_dpp v118, v3 row_shr:4 row_mask:0xf bank_mask:0xf
	s_delay_alu instid0(VALU_DEP_1) | instskip(NEXT) | instid1(VALU_DEP_1)
	v_cndmask_b32_e64 v118, 0, v118, s4
	v_add_nc_u32_e32 v3, v3, v118
	s_delay_alu instid0(VALU_DEP_1) | instskip(NEXT) | instid1(VALU_DEP_1)
	v_mov_b32_dpp v118, v3 row_shr:8 row_mask:0xf bank_mask:0xf
	v_cndmask_b32_e64 v118, 0, v118, s5
	s_delay_alu instid0(VALU_DEP_1) | instskip(SKIP_3) | instid1(VALU_DEP_1)
	v_add_nc_u32_e32 v3, v3, v118
	ds_swizzle_b32 v118, v3 offset:swizzle(BROADCAST,32,15)
	s_waitcnt lgkmcnt(0)
	v_cndmask_b32_e64 v118, v118, 0, s6
	v_add_nc_u32_e32 v3, v3, v118
	s_and_saveexec_b32 s12, s11
	s_cbranch_execz .LBB41_40
; %bb.39:                               ;   in Loop: Header=BB41_6 Depth=2
	ds_store_b32 v25, v3
.LBB41_40:                              ;   in Loop: Header=BB41_6 Depth=2
	s_or_b32 exec_lo, exec_lo, s12
	s_waitcnt lgkmcnt(0)
	s_barrier
	buffer_gl0_inv
	s_and_saveexec_b32 s12, s7
	s_cbranch_execz .LBB41_42
; %bb.41:                               ;   in Loop: Header=BB41_6 Depth=2
	v_add_nc_u32_e32 v118, v19, v21
	ds_load_b32 v119, v118
	s_waitcnt lgkmcnt(0)
	v_mov_b32_dpp v120, v119 row_shr:1 row_mask:0xf bank_mask:0xf
	s_delay_alu instid0(VALU_DEP_1) | instskip(NEXT) | instid1(VALU_DEP_1)
	v_cndmask_b32_e64 v120, v120, 0, s2
	v_add_nc_u32_e32 v119, v120, v119
	s_delay_alu instid0(VALU_DEP_1) | instskip(NEXT) | instid1(VALU_DEP_1)
	v_mov_b32_dpp v120, v119 row_shr:2 row_mask:0xf bank_mask:0xf
	v_cndmask_b32_e64 v120, 0, v120, s3
	s_delay_alu instid0(VALU_DEP_1) | instskip(NEXT) | instid1(VALU_DEP_1)
	v_add_nc_u32_e32 v119, v119, v120
	v_mov_b32_dpp v120, v119 row_shr:4 row_mask:0xf bank_mask:0xf
	s_delay_alu instid0(VALU_DEP_1) | instskip(NEXT) | instid1(VALU_DEP_1)
	v_cndmask_b32_e64 v120, 0, v120, s4
	v_add_nc_u32_e32 v119, v119, v120
	s_delay_alu instid0(VALU_DEP_1) | instskip(NEXT) | instid1(VALU_DEP_1)
	v_mov_b32_dpp v120, v119 row_shr:8 row_mask:0xf bank_mask:0xf
	v_cndmask_b32_e64 v120, 0, v120, s5
	s_delay_alu instid0(VALU_DEP_1)
	v_add_nc_u32_e32 v119, v119, v120
	ds_store_b32 v118, v119
.LBB41_42:                              ;   in Loop: Header=BB41_6 Depth=2
	s_or_b32 exec_lo, exec_lo, s12
	v_mov_b32_e32 v118, 0
	s_waitcnt lgkmcnt(0)
	s_barrier
	buffer_gl0_inv
	s_and_saveexec_b32 s12, s8
	s_cbranch_execz .LBB41_44
; %bb.43:                               ;   in Loop: Header=BB41_6 Depth=2
	ds_load_b32 v118, v43
.LBB41_44:                              ;   in Loop: Header=BB41_6 Depth=2
	s_or_b32 exec_lo, exec_lo, s12
	s_waitcnt lgkmcnt(0)
	v_add_nc_u32_e32 v3, v118, v3
	s_cmp_gt_u32 s20, 23
	ds_bpermute_b32 v3, v24, v3
	s_waitcnt lgkmcnt(0)
	v_cndmask_b32_e64 v3, v3, v118, s1
	s_delay_alu instid0(VALU_DEP_1) | instskip(NEXT) | instid1(VALU_DEP_1)
	v_cndmask_b32_e64 v3, v3, 0, s9
	v_add_nc_u32_e32 v4, v3, v4
	s_delay_alu instid0(VALU_DEP_1) | instskip(NEXT) | instid1(VALU_DEP_1)
	v_add_nc_u32_e32 v5, v4, v5
	v_add_nc_u32_e32 v6, v5, v6
	s_delay_alu instid0(VALU_DEP_1) | instskip(NEXT) | instid1(VALU_DEP_1)
	v_add_nc_u32_e32 v118, v6, v7
	;; [unrolled: 3-line block ×3, first 2 shown]
	v_add_nc_u32_e32 v1, v0, v2
	ds_store_2addr_b64 v19, v[3:4], v[5:6] offset0:5 offset1:6
	ds_store_2addr_b64 v23, v[118:119], v[0:1] offset0:2 offset1:3
	s_waitcnt lgkmcnt(0)
	s_barrier
	buffer_gl0_inv
	ds_load_b32 v0, v72
	ds_load_b32 v1, v75
	;; [unrolled: 1-line block ×16, first 2 shown]
	s_waitcnt lgkmcnt(15)
	v_add_nc_u32_e32 v78, v0, v71
	s_waitcnt lgkmcnt(14)
	v_add3_u32 v73, v74, v73, v1
	s_waitcnt lgkmcnt(13)
	v_add3_u32 v74, v77, v76, v2
	;; [unrolled: 2-line block ×15, first 2 shown]
	s_cbranch_scc0 .LBB41_5
; %bb.45:                               ;   in Loop: Header=BB41_2 Depth=1
                                        ; implicit-def: $sgpr20
                                        ; implicit-def: $vgpr92
                                        ; implicit-def: $vgpr93
                                        ; implicit-def: $vgpr94
                                        ; implicit-def: $vgpr90
                                        ; implicit-def: $vgpr91
                                        ; implicit-def: $vgpr89
                                        ; implicit-def: $vgpr88
                                        ; implicit-def: $vgpr82
                                        ; implicit-def: $vgpr81
                                        ; implicit-def: $vgpr79
                                        ; implicit-def: $vgpr80
                                        ; implicit-def: $vgpr84
                                        ; implicit-def: $vgpr83
                                        ; implicit-def: $vgpr85
                                        ; implicit-def: $vgpr87
                                        ; implicit-def: $vgpr86
.LBB41_46:                              ;   in Loop: Header=BB41_2 Depth=1
	v_lshrrev_b32_e32 v79, 3, v78
	v_lshrrev_b32_e32 v80, 3, v73
	;; [unrolled: 1-line block ×5, first 2 shown]
	v_and_b32_e32 v79, 0x1ffffffc, v79
	v_lshrrev_b32_e32 v84, 3, v77
	s_barrier
	buffer_gl0_inv
	v_lshl_add_u32 v78, v78, 2, v79
	v_and_b32_e32 v79, 0x1ffffffc, v80
	v_and_b32_e32 v80, 0x1ffffffc, v81
	;; [unrolled: 1-line block ×4, first 2 shown]
	ds_store_b32 v78, v13
	v_and_b32_e32 v13, 0x1ffffffc, v84
	v_lshl_add_u32 v73, v73, 2, v79
	v_lshl_add_u32 v74, v74, 2, v80
	;; [unrolled: 1-line block ×5, first 2 shown]
	ds_store_b32 v73, v12
	ds_store_b32 v74, v11
	ds_store_b32 v75, v14
	ds_store_b32 v76, v15
	ds_store_b32 v13, v16
	v_lshrrev_b32_e32 v11, 3, v5
	v_lshrrev_b32_e32 v12, 3, v6
	v_lshrrev_b32_e32 v13, 3, v7
	v_lshrrev_b32_e32 v14, 3, v71
	v_lshrrev_b32_e32 v15, 3, v72
	v_and_b32_e32 v11, 0x1ffffffc, v11
	v_and_b32_e32 v12, 0x1ffffffc, v12
	;; [unrolled: 1-line block ×5, first 2 shown]
	v_lshl_add_u32 v5, v5, 2, v11
	v_lshl_add_u32 v6, v6, 2, v12
	;; [unrolled: 1-line block ×5, first 2 shown]
	ds_store_b32 v5, v66
	ds_store_b32 v6, v67
	;; [unrolled: 1-line block ×5, first 2 shown]
	v_lshrrev_b32_e32 v5, 3, v0
	v_lshrrev_b32_e32 v6, 3, v1
	;; [unrolled: 1-line block ×5, first 2 shown]
	v_and_b32_e32 v5, 0x1ffffffc, v5
	v_and_b32_e32 v6, 0x1ffffffc, v6
	;; [unrolled: 1-line block ×5, first 2 shown]
	v_lshl_add_u32 v0, v0, 2, v5
	v_lshl_add_u32 v1, v1, 2, v6
	v_lshl_add_u32 v2, v2, 2, v7
	v_lshl_add_u32 v3, v3, 2, v11
	v_lshl_add_u32 v4, v4, 2, v12
	ds_store_b32 v0, v17
	ds_store_b32 v1, v64
	;; [unrolled: 1-line block ×5, first 2 shown]
	s_waitcnt lgkmcnt(0)
	s_barrier
	buffer_gl0_inv
	ds_load_2addr_b32 v[0:1], v26 offset1:1
	ds_load_2addr_b32 v[2:3], v26 offset0:2 offset1:3
	ds_load_2addr_b32 v[4:5], v26 offset0:4 offset1:5
	;; [unrolled: 1-line block ×7, first 2 shown]
	s_waitcnt lgkmcnt(0)
	s_barrier
	buffer_gl0_inv
	s_and_saveexec_b32 s12, s0
	s_cbranch_execz .LBB41_48
; %bb.47:                               ;   in Loop: Header=BB41_2 Depth=1
	ds_store_2addr_stride64_b32 v22, v62, v62 offset0:10 offset1:15
.LBB41_48:                              ;   in Loop: Header=BB41_2 Depth=1
	s_or_b32 exec_lo, exec_lo, s12
	v_xor_b32_e32 v63, 0x80000000, v17
	v_xor_b32_e32 v64, 0x80000000, v18
	v_add_nc_u32_e32 v65, v19, v21
	s_mov_b32 s12, exec_lo
	s_waitcnt lgkmcnt(0)
	v_lshlrev_b32_e32 v63, 2, v63
	s_barrier
	buffer_gl0_inv
	ds_store_b32 v65, v64
	v_cmpx_ne_u32_e64 v17, v18
	s_cbranch_execz .LBB41_50
; %bb.49:                               ;   in Loop: Header=BB41_2 Depth=1
	v_lshlrev_b32_e32 v64, 2, v64
	ds_store_b32 v64, v27 offset:2560
	ds_store_b32 v63, v27 offset:3840
.LBB41_50:                              ;   in Loop: Header=BB41_2 Depth=1
	s_or_b32 exec_lo, exec_lo, s12
	v_xor_b32_e32 v64, 0x80000000, v16
	s_mov_b32 s12, exec_lo
	s_delay_alu instid0(VALU_DEP_1)
	v_lshlrev_b32_e32 v64, 2, v64
	v_cmpx_ne_u32_e64 v16, v17
	s_cbranch_execz .LBB41_52
; %bb.51:                               ;   in Loop: Header=BB41_2 Depth=1
	ds_store_b32 v63, v28 offset:2560
	ds_store_b32 v64, v28 offset:3840
.LBB41_52:                              ;   in Loop: Header=BB41_2 Depth=1
	s_or_b32 exec_lo, exec_lo, s12
	v_xor_b32_e32 v63, 0x80000000, v15
	s_mov_b32 s12, exec_lo
	s_delay_alu instid0(VALU_DEP_1)
	v_lshlrev_b32_e32 v63, 2, v63
	v_cmpx_ne_u32_e64 v15, v16
	s_cbranch_execz .LBB41_54
; %bb.53:                               ;   in Loop: Header=BB41_2 Depth=1
	ds_store_b32 v64, v29 offset:2560
	ds_store_b32 v63, v29 offset:3840
.LBB41_54:                              ;   in Loop: Header=BB41_2 Depth=1
	;; [unrolled: 11-line block ×14, first 2 shown]
	s_or_b32 exec_lo, exec_lo, s12
	s_waitcnt lgkmcnt(0)
	s_barrier
	buffer_gl0_inv
	s_and_saveexec_b32 s12, s10
	s_cbranch_execz .LBB41_81
; %bb.79:                               ;   in Loop: Header=BB41_2 Depth=1
	ds_load_b32 v65, v42
	s_waitcnt lgkmcnt(0)
	v_cmp_ne_u32_e32 vcc_lo, v65, v64
	s_and_b32 exec_lo, exec_lo, vcc_lo
	s_cbranch_execz .LBB41_81
; %bb.80:                               ;   in Loop: Header=BB41_2 Depth=1
	ds_store_b32 v63, v9 offset:2560
	ds_load_b32 v64, v42
	s_waitcnt lgkmcnt(0)
	v_lshlrev_b32_e32 v64, 2, v64
	ds_store_b32 v64, v9 offset:3840
.LBB41_81:                              ;   in Loop: Header=BB41_2 Depth=1
	s_or_b32 exec_lo, exec_lo, s12
	s_waitcnt lgkmcnt(0)
	s_barrier
	buffer_gl0_inv
	s_and_saveexec_b32 s12, s9
	s_cbranch_execz .LBB41_83
; %bb.82:                               ;   in Loop: Header=BB41_2 Depth=1
	ds_store_b32 v63, v10 offset:2560
.LBB41_83:                              ;   in Loop: Header=BB41_2 Depth=1
	s_or_b32 exec_lo, exec_lo, s12
	s_waitcnt lgkmcnt(0)
	s_barrier
	buffer_gl0_inv
	s_and_saveexec_b32 s12, s0
	s_cbranch_execz .LBB41_1
; %bb.84:                               ;   in Loop: Header=BB41_2 Depth=1
	ds_load_2addr_stride64_b32 v[63:64], v22 offset0:10 offset1:15
	ds_load_b32 v65, v20
	s_waitcnt lgkmcnt(1)
	v_sub_nc_u32_e32 v63, v64, v63
	s_waitcnt lgkmcnt(0)
	s_delay_alu instid0(VALU_DEP_1)
	v_add_nc_u32_e32 v63, v63, v65
	ds_store_b32 v20, v63
	s_branch .LBB41_1
.LBB41_85:
	s_and_saveexec_b32 s1, s0
	s_cbranch_execz .LBB41_87
; %bb.86:
	ds_load_b32 v2, v20
	v_mov_b32_e32 v9, 0
	s_delay_alu instid0(VALU_DEP_1) | instskip(NEXT) | instid1(VALU_DEP_1)
	v_lshlrev_b64 v[0:1], 2, v[8:9]
	v_add_co_u32 v0, vcc_lo, s18, v0
	s_delay_alu instid0(VALU_DEP_2)
	v_add_co_ci_u32_e32 v1, vcc_lo, s19, v1, vcc_lo
	s_waitcnt lgkmcnt(0)
	global_store_b32 v[0:1], v2, off
.LBB41_87:
	s_nop 0
	s_sendmsg sendmsg(MSG_DEALLOC_VGPRS)
	s_endpgm
	.section	.rodata,"a",@progbits
	.p2align	6, 0x0
	.amdhsa_kernel _Z6kernelI9histogramILN6hipcub23BlockHistogramAlgorithmE1EEiLj320ELj16ELj320ELj100EEvPKT0_PS4_
		.amdhsa_group_segment_fixed_size 22400
		.amdhsa_private_segment_fixed_size 0
		.amdhsa_kernarg_size 272
		.amdhsa_user_sgpr_count 15
		.amdhsa_user_sgpr_dispatch_ptr 0
		.amdhsa_user_sgpr_queue_ptr 0
		.amdhsa_user_sgpr_kernarg_segment_ptr 1
		.amdhsa_user_sgpr_dispatch_id 0
		.amdhsa_user_sgpr_private_segment_size 0
		.amdhsa_wavefront_size32 1
		.amdhsa_uses_dynamic_stack 0
		.amdhsa_enable_private_segment 0
		.amdhsa_system_sgpr_workgroup_id_x 1
		.amdhsa_system_sgpr_workgroup_id_y 0
		.amdhsa_system_sgpr_workgroup_id_z 0
		.amdhsa_system_sgpr_workgroup_info 0
		.amdhsa_system_vgpr_workitem_id 2
		.amdhsa_next_free_vgpr 121
		.amdhsa_next_free_sgpr 22
		.amdhsa_reserve_vcc 1
		.amdhsa_float_round_mode_32 0
		.amdhsa_float_round_mode_16_64 0
		.amdhsa_float_denorm_mode_32 3
		.amdhsa_float_denorm_mode_16_64 3
		.amdhsa_dx10_clamp 1
		.amdhsa_ieee_mode 1
		.amdhsa_fp16_overflow 0
		.amdhsa_workgroup_processor_mode 1
		.amdhsa_memory_ordered 1
		.amdhsa_forward_progress 0
		.amdhsa_shared_vgpr_count 0
		.amdhsa_exception_fp_ieee_invalid_op 0
		.amdhsa_exception_fp_denorm_src 0
		.amdhsa_exception_fp_ieee_div_zero 0
		.amdhsa_exception_fp_ieee_overflow 0
		.amdhsa_exception_fp_ieee_underflow 0
		.amdhsa_exception_fp_ieee_inexact 0
		.amdhsa_exception_int_div_zero 0
	.end_amdhsa_kernel
	.section	.text._Z6kernelI9histogramILN6hipcub23BlockHistogramAlgorithmE1EEiLj320ELj16ELj320ELj100EEvPKT0_PS4_,"axG",@progbits,_Z6kernelI9histogramILN6hipcub23BlockHistogramAlgorithmE1EEiLj320ELj16ELj320ELj100EEvPKT0_PS4_,comdat
.Lfunc_end41:
	.size	_Z6kernelI9histogramILN6hipcub23BlockHistogramAlgorithmE1EEiLj320ELj16ELj320ELj100EEvPKT0_PS4_, .Lfunc_end41-_Z6kernelI9histogramILN6hipcub23BlockHistogramAlgorithmE1EEiLj320ELj16ELj320ELj100EEvPKT0_PS4_
                                        ; -- End function
	.section	.AMDGPU.csdata,"",@progbits
; Kernel info:
; codeLenInByte = 9816
; NumSgprs: 24
; NumVgprs: 121
; ScratchSize: 0
; MemoryBound: 0
; FloatMode: 240
; IeeeMode: 1
; LDSByteSize: 22400 bytes/workgroup (compile time only)
; SGPRBlocks: 2
; VGPRBlocks: 15
; NumSGPRsForWavesPerEU: 24
; NumVGPRsForWavesPerEU: 121
; Occupancy: 10
; WaveLimiterHint : 0
; COMPUTE_PGM_RSRC2:SCRATCH_EN: 0
; COMPUTE_PGM_RSRC2:USER_SGPR: 15
; COMPUTE_PGM_RSRC2:TRAP_HANDLER: 0
; COMPUTE_PGM_RSRC2:TGID_X_EN: 1
; COMPUTE_PGM_RSRC2:TGID_Y_EN: 0
; COMPUTE_PGM_RSRC2:TGID_Z_EN: 0
; COMPUTE_PGM_RSRC2:TIDIG_COMP_CNT: 2
	.section	.text._Z6kernelI9histogramILN6hipcub23BlockHistogramAlgorithmE1EEiLj512ELj1ELj512ELj100EEvPKT0_PS4_,"axG",@progbits,_Z6kernelI9histogramILN6hipcub23BlockHistogramAlgorithmE1EEiLj512ELj1ELj512ELj100EEvPKT0_PS4_,comdat
	.protected	_Z6kernelI9histogramILN6hipcub23BlockHistogramAlgorithmE1EEiLj512ELj1ELj512ELj100EEvPKT0_PS4_ ; -- Begin function _Z6kernelI9histogramILN6hipcub23BlockHistogramAlgorithmE1EEiLj512ELj1ELj512ELj100EEvPKT0_PS4_
	.globl	_Z6kernelI9histogramILN6hipcub23BlockHistogramAlgorithmE1EEiLj512ELj1ELj512ELj100EEvPKT0_PS4_
	.p2align	8
	.type	_Z6kernelI9histogramILN6hipcub23BlockHistogramAlgorithmE1EEiLj512ELj1ELj512ELj100EEvPKT0_PS4_,@function
_Z6kernelI9histogramILN6hipcub23BlockHistogramAlgorithmE1EEiLj512ELj1ELj512ELj100EEvPKT0_PS4_: ; @_Z6kernelI9histogramILN6hipcub23BlockHistogramAlgorithmE1EEiLj512ELj1ELj512ELj100EEvPKT0_PS4_
; %bb.0:
	s_clause 0x1
	s_load_b128 s[16:19], s[0:1], 0x0
	s_load_b32 s10, s[0:1], 0x1c
	v_dual_mov_b32 v9, 0 :: v_dual_and_b32 v10, 0x3ff, v0
	s_lshl_b32 s2, s15, 9
	v_mbcnt_lo_u32_b32 v3, -1, 0
	s_mov_b32 s14, 0
	s_delay_alu instid0(VALU_DEP_2) | instskip(SKIP_1) | instid1(SALU_CYCLE_1)
	v_or_b32_e32 v8, s2, v10
	s_mov_b32 s15, s14
	v_dual_mov_b32 v11, s14 :: v_dual_mov_b32 v12, s15
	v_add_nc_u32_e32 v6, -1, v3
	s_delay_alu instid0(VALU_DEP_3) | instskip(SKIP_2) | instid1(VALU_DEP_4)
	v_lshlrev_b64 v[1:2], 2, v[8:9]
	v_dual_mov_b32 v25, 0x200 :: v_dual_and_b32 v4, 15, v3
	v_and_b32_e32 v5, 16, v3
	v_cmp_gt_i32_e64 s8, 0, v6
	v_lshlrev_b32_e32 v16, 5, v10
	s_delay_alu instid0(VALU_DEP_4)
	v_cmp_eq_u32_e64 s1, 0, v4
	v_cmp_lt_u32_e64 s2, 1, v4
	s_waitcnt lgkmcnt(0)
	v_add_co_u32 v1, vcc_lo, s16, v1
	v_add_co_ci_u32_e32 v2, vcc_lo, s17, v2, vcc_lo
	s_lshr_b32 s11, s10, 16
	v_cmp_lt_u32_e64 s3, 3, v4
	v_cmp_lt_u32_e64 s4, 7, v4
	global_load_b32 v2, v[1:2], off
	v_bfe_u32 v1, v0, 10, 10
	v_bfe_u32 v0, v0, 20, 10
	v_cmp_eq_u32_e64 s5, 0, v5
	v_and_b32_e32 v4, 0x1e0, v10
	v_cndmask_b32_e64 v5, v6, v3, s8
	v_lshrrev_b32_e32 v6, 3, v10
	v_mad_u32_u24 v7, v0, s11, v1
	s_and_b32 s10, s10, 0xffff
	v_or_b32_e32 v21, 31, v4
	v_mad_i32_i24 v19, 0xffffffe4, v10, v16
	v_and_b32_e32 v18, 60, v6
	v_mad_u64_u32 v[0:1], null, v7, s10, v[10:11]
	v_or_b32_e32 v1, v3, v4
	s_mov_b32 s16, s14
	s_mov_b32 s17, s14
	s_delay_alu instid0(SALU_CYCLE_1)
	v_dual_mov_b32 v13, s16 :: v_dual_mov_b32 v14, s17
	v_cmp_eq_u32_e64 s0, 0, v3
	v_cmp_gt_u32_e32 vcc_lo, 0x200, v10
	v_cmp_gt_u32_e64 s6, 16, v10
	v_cmp_lt_u32_e64 s7, 31, v10
	v_cmp_eq_u32_e64 s8, 0, v10
	v_cmp_ne_u32_e64 s9, 0, v10
	v_lshl_add_u32 v15, v10, 2, 0x4040
	v_add_nc_u32_e32 v17, 64, v16
	v_lshlrev_b32_e32 v20, 2, v5
	v_cmp_eq_u32_e64 s10, v21, v10
	v_add_nc_u32_e32 v21, -4, v18
	v_lshlrev_b32_e32 v22, 2, v1
	v_add_nc_u32_e32 v23, -4, v19
	v_lshrrev_b32_e32 v24, 5, v0
	s_movk_i32 s20, 0x64
	s_waitcnt vmcnt(0)
	v_xor_b32_e32 v26, 0x80000000, v2
	s_branch .LBB42_2
.LBB42_1:                               ;   in Loop: Header=BB42_2 Depth=1
	s_or_b32 exec_lo, exec_lo, s11
	s_add_i32 s20, s20, -1
	s_delay_alu instid0(SALU_CYCLE_1)
	s_cmp_eq_u32 s20, 0
	s_cbranch_scc1 .LBB42_45
.LBB42_2:                               ; =>This Inner Loop Header: Depth=1
	s_and_saveexec_b32 s11, vcc_lo
	s_cbranch_execz .LBB42_4
; %bb.3:                                ;   in Loop: Header=BB42_2 Depth=1
	ds_store_b32 v15, v9
.LBB42_4:                               ;   in Loop: Header=BB42_2 Depth=1
	s_or_b32 exec_lo, exec_lo, s11
	v_and_b32_e32 v0, 1, v26
	v_lshlrev_b32_e32 v1, 30, v26
	v_lshlrev_b32_e32 v2, 29, v26
	;; [unrolled: 1-line block ×4, first 2 shown]
	v_add_co_u32 v0, s11, v0, -1
	s_delay_alu instid0(VALU_DEP_1)
	v_cndmask_b32_e64 v3, 0, 1, s11
	v_not_b32_e32 v7, v1
	v_cmp_gt_i32_e64 s12, 0, v1
	v_not_b32_e32 v1, v2
	v_lshlrev_b32_e32 v6, 26, v26
	v_cmp_ne_u32_e64 s11, 0, v3
	v_ashrrev_i32_e32 v7, 31, v7
	v_lshlrev_b32_e32 v3, 25, v26
	v_ashrrev_i32_e32 v1, 31, v1
	v_cmp_gt_i32_e64 s13, 0, v5
	v_xor_b32_e32 v0, s11, v0
	v_cmp_gt_i32_e64 s11, 0, v2
	v_not_b32_e32 v2, v4
	v_xor_b32_e32 v7, s12, v7
	v_cmp_gt_i32_e64 s12, 0, v4
	v_and_b32_e32 v0, exec_lo, v0
	v_xor_b32_e32 v1, s11, v1
	v_ashrrev_i32_e32 v2, 31, v2
	v_not_b32_e32 v4, v5
	v_not_b32_e32 v5, v6
	v_and_b32_e32 v0, v0, v7
	v_cmp_gt_i32_e64 s11, 0, v6
	v_xor_b32_e32 v2, s12, v2
	v_not_b32_e32 v6, v3
	s_waitcnt lgkmcnt(0)
	v_and_b32_e32 v0, v0, v1
	v_ashrrev_i32_e32 v1, 31, v4
	v_ashrrev_i32_e32 v4, 31, v5
	v_lshlrev_b32_e32 v5, 24, v26
	s_barrier
	v_and_b32_e32 v0, v0, v2
	v_xor_b32_e32 v1, s13, v1
	v_xor_b32_e32 v2, s11, v4
	v_cmp_gt_i32_e64 s11, 0, v3
	v_not_b32_e32 v3, v5
	v_ashrrev_i32_e32 v4, 31, v6
	v_and_b32_e32 v0, v0, v1
	v_cmp_gt_i32_e64 s12, 0, v5
	buffer_gl0_inv
	v_ashrrev_i32_e32 v1, 31, v3
	v_xor_b32_e32 v3, s11, v4
	v_and_b32_e32 v0, v0, v2
	ds_store_2addr_b64 v16, v[11:12], v[13:14] offset0:8 offset1:9
	ds_store_2addr_b64 v17, v[11:12], v[13:14] offset0:2 offset1:3
	s_waitcnt lgkmcnt(0)
	v_xor_b32_e32 v1, s12, v1
	s_barrier
	v_and_b32_e32 v0, v0, v3
	buffer_gl0_inv
	; wave barrier
	v_and_b32_e32 v0, v0, v1
	v_and_b32_e32 v1, 0xff, v26
	s_delay_alu instid0(VALU_DEP_2) | instskip(NEXT) | instid1(VALU_DEP_2)
	v_mbcnt_lo_u32_b32 v27, v0, 0
	v_lshl_add_u32 v1, v1, 4, v24
	v_cmp_ne_u32_e64 s12, 0, v0
	s_delay_alu instid0(VALU_DEP_3) | instskip(NEXT) | instid1(VALU_DEP_3)
	v_cmp_eq_u32_e64 s11, 0, v27
	v_lshl_add_u32 v28, v1, 2, 64
	s_delay_alu instid0(VALU_DEP_2) | instskip(NEXT) | instid1(SALU_CYCLE_1)
	s_and_b32 s12, s12, s11
	s_and_saveexec_b32 s11, s12
	s_cbranch_execz .LBB42_6
; %bb.5:                                ;   in Loop: Header=BB42_2 Depth=1
	v_bcnt_u32_b32 v0, v0, 0
	ds_store_b32 v28, v0
.LBB42_6:                               ;   in Loop: Header=BB42_2 Depth=1
	s_or_b32 exec_lo, exec_lo, s11
	; wave barrier
	s_waitcnt lgkmcnt(0)
	s_barrier
	buffer_gl0_inv
	ds_load_2addr_b64 v[4:7], v16 offset0:8 offset1:9
	ds_load_2addr_b64 v[0:3], v17 offset0:2 offset1:3
	s_waitcnt lgkmcnt(1)
	v_add_nc_u32_e32 v29, v5, v4
	s_delay_alu instid0(VALU_DEP_1) | instskip(SKIP_1) | instid1(VALU_DEP_1)
	v_add3_u32 v29, v29, v6, v7
	s_waitcnt lgkmcnt(0)
	v_add3_u32 v29, v29, v0, v1
	s_delay_alu instid0(VALU_DEP_1) | instskip(NEXT) | instid1(VALU_DEP_1)
	v_add3_u32 v3, v29, v2, v3
	v_mov_b32_dpp v29, v3 row_shr:1 row_mask:0xf bank_mask:0xf
	s_delay_alu instid0(VALU_DEP_1) | instskip(NEXT) | instid1(VALU_DEP_1)
	v_cndmask_b32_e64 v29, v29, 0, s1
	v_add_nc_u32_e32 v3, v29, v3
	s_delay_alu instid0(VALU_DEP_1) | instskip(NEXT) | instid1(VALU_DEP_1)
	v_mov_b32_dpp v29, v3 row_shr:2 row_mask:0xf bank_mask:0xf
	v_cndmask_b32_e64 v29, 0, v29, s2
	s_delay_alu instid0(VALU_DEP_1) | instskip(NEXT) | instid1(VALU_DEP_1)
	v_add_nc_u32_e32 v3, v3, v29
	v_mov_b32_dpp v29, v3 row_shr:4 row_mask:0xf bank_mask:0xf
	s_delay_alu instid0(VALU_DEP_1) | instskip(NEXT) | instid1(VALU_DEP_1)
	v_cndmask_b32_e64 v29, 0, v29, s3
	v_add_nc_u32_e32 v3, v3, v29
	s_delay_alu instid0(VALU_DEP_1) | instskip(NEXT) | instid1(VALU_DEP_1)
	v_mov_b32_dpp v29, v3 row_shr:8 row_mask:0xf bank_mask:0xf
	v_cndmask_b32_e64 v29, 0, v29, s4
	s_delay_alu instid0(VALU_DEP_1) | instskip(SKIP_3) | instid1(VALU_DEP_1)
	v_add_nc_u32_e32 v3, v3, v29
	ds_swizzle_b32 v29, v3 offset:swizzle(BROADCAST,32,15)
	s_waitcnt lgkmcnt(0)
	v_cndmask_b32_e64 v29, v29, 0, s5
	v_add_nc_u32_e32 v3, v3, v29
	s_and_saveexec_b32 s11, s10
	s_cbranch_execz .LBB42_8
; %bb.7:                                ;   in Loop: Header=BB42_2 Depth=1
	ds_store_b32 v18, v3
.LBB42_8:                               ;   in Loop: Header=BB42_2 Depth=1
	s_or_b32 exec_lo, exec_lo, s11
	s_waitcnt lgkmcnt(0)
	s_barrier
	buffer_gl0_inv
	s_and_saveexec_b32 s11, s6
	s_cbranch_execz .LBB42_10
; %bb.9:                                ;   in Loop: Header=BB42_2 Depth=1
	ds_load_b32 v29, v19
	s_waitcnt lgkmcnt(0)
	v_mov_b32_dpp v30, v29 row_shr:1 row_mask:0xf bank_mask:0xf
	s_delay_alu instid0(VALU_DEP_1) | instskip(NEXT) | instid1(VALU_DEP_1)
	v_cndmask_b32_e64 v30, v30, 0, s1
	v_add_nc_u32_e32 v29, v30, v29
	s_delay_alu instid0(VALU_DEP_1) | instskip(NEXT) | instid1(VALU_DEP_1)
	v_mov_b32_dpp v30, v29 row_shr:2 row_mask:0xf bank_mask:0xf
	v_cndmask_b32_e64 v30, 0, v30, s2
	s_delay_alu instid0(VALU_DEP_1) | instskip(NEXT) | instid1(VALU_DEP_1)
	v_add_nc_u32_e32 v29, v29, v30
	v_mov_b32_dpp v30, v29 row_shr:4 row_mask:0xf bank_mask:0xf
	s_delay_alu instid0(VALU_DEP_1) | instskip(NEXT) | instid1(VALU_DEP_1)
	v_cndmask_b32_e64 v30, 0, v30, s3
	v_add_nc_u32_e32 v29, v29, v30
	s_delay_alu instid0(VALU_DEP_1) | instskip(NEXT) | instid1(VALU_DEP_1)
	v_mov_b32_dpp v30, v29 row_shr:8 row_mask:0xf bank_mask:0xf
	v_cndmask_b32_e64 v30, 0, v30, s4
	s_delay_alu instid0(VALU_DEP_1)
	v_add_nc_u32_e32 v29, v29, v30
	ds_store_b32 v19, v29
.LBB42_10:                              ;   in Loop: Header=BB42_2 Depth=1
	s_or_b32 exec_lo, exec_lo, s11
	v_mov_b32_e32 v29, 0
	s_waitcnt lgkmcnt(0)
	s_barrier
	buffer_gl0_inv
	s_and_saveexec_b32 s11, s7
	s_cbranch_execz .LBB42_12
; %bb.11:                               ;   in Loop: Header=BB42_2 Depth=1
	ds_load_b32 v29, v21
.LBB42_12:                              ;   in Loop: Header=BB42_2 Depth=1
	s_or_b32 exec_lo, exec_lo, s11
	s_waitcnt lgkmcnt(0)
	v_add_nc_u32_e32 v3, v29, v3
	ds_bpermute_b32 v3, v20, v3
	s_waitcnt lgkmcnt(0)
	v_cndmask_b32_e64 v3, v3, v29, s0
	s_delay_alu instid0(VALU_DEP_1) | instskip(NEXT) | instid1(VALU_DEP_1)
	v_cndmask_b32_e64 v3, v3, 0, s8
	v_add_nc_u32_e32 v4, v3, v4
	s_delay_alu instid0(VALU_DEP_1) | instskip(NEXT) | instid1(VALU_DEP_1)
	v_add_nc_u32_e32 v5, v4, v5
	v_add_nc_u32_e32 v6, v5, v6
	s_delay_alu instid0(VALU_DEP_1) | instskip(NEXT) | instid1(VALU_DEP_1)
	v_add_nc_u32_e32 v29, v6, v7
	;; [unrolled: 3-line block ×3, first 2 shown]
	v_add_nc_u32_e32 v1, v0, v2
	ds_store_2addr_b64 v16, v[3:4], v[5:6] offset0:8 offset1:9
	ds_store_2addr_b64 v17, v[29:30], v[0:1] offset0:2 offset1:3
	s_waitcnt lgkmcnt(0)
	s_barrier
	buffer_gl0_inv
	ds_load_b32 v0, v28
	v_lshlrev_b32_e32 v1, 2, v27
	s_waitcnt lgkmcnt(0)
	s_barrier
	buffer_gl0_inv
	v_lshl_add_u32 v0, v0, 2, v1
	ds_store_b32 v0, v26
	s_waitcnt lgkmcnt(0)
	s_barrier
	buffer_gl0_inv
	ds_load_b32 v26, v22
	s_waitcnt lgkmcnt(0)
	s_barrier
	buffer_gl0_inv
	ds_store_2addr_b64 v16, v[11:12], v[13:14] offset0:8 offset1:9
	ds_store_2addr_b64 v17, v[11:12], v[13:14] offset0:2 offset1:3
	s_waitcnt lgkmcnt(0)
	s_barrier
	buffer_gl0_inv
	; wave barrier
	v_bfe_u32 v0, v26, 8, 1
	v_lshrrev_b32_e32 v1, 8, v26
	s_delay_alu instid0(VALU_DEP_2) | instskip(NEXT) | instid1(VALU_DEP_1)
	v_add_co_u32 v0, s11, v0, -1
	v_cndmask_b32_e64 v2, 0, 1, s11
	s_delay_alu instid0(VALU_DEP_3)
	v_lshlrev_b32_e32 v3, 30, v1
	v_lshlrev_b32_e32 v4, 29, v1
	;; [unrolled: 1-line block ×4, first 2 shown]
	v_cmp_ne_u32_e64 s11, 0, v2
	v_not_b32_e32 v2, v3
	v_cmp_gt_i32_e64 s12, 0, v3
	v_not_b32_e32 v3, v4
	v_lshlrev_b32_e32 v7, 26, v1
	v_xor_b32_e32 v0, s11, v0
	v_ashrrev_i32_e32 v2, 31, v2
	v_cmp_gt_i32_e64 s11, 0, v4
	v_not_b32_e32 v4, v5
	v_ashrrev_i32_e32 v3, 31, v3
	v_and_b32_e32 v0, exec_lo, v0
	v_xor_b32_e32 v2, s12, v2
	v_cmp_gt_i32_e64 s12, 0, v5
	v_not_b32_e32 v5, v6
	v_ashrrev_i32_e32 v4, 31, v4
	v_xor_b32_e32 v3, s11, v3
	v_and_b32_e32 v0, v0, v2
	v_lshlrev_b32_e32 v27, 25, v1
	v_cmp_gt_i32_e64 s11, 0, v6
	v_not_b32_e32 v2, v7
	v_ashrrev_i32_e32 v5, 31, v5
	v_xor_b32_e32 v4, s12, v4
	v_and_b32_e32 v0, v0, v3
	v_lshlrev_b32_e32 v1, 24, v1
	v_cmp_gt_i32_e64 s12, 0, v7
	v_not_b32_e32 v3, v27
	v_ashrrev_i32_e32 v2, 31, v2
	v_xor_b32_e32 v5, s11, v5
	v_and_b32_e32 v0, v0, v4
	v_cmp_gt_i32_e64 s11, 0, v27
	v_not_b32_e32 v4, v1
	v_ashrrev_i32_e32 v3, 31, v3
	v_xor_b32_e32 v2, s12, v2
	v_and_b32_e32 v0, v0, v5
	v_cmp_gt_i32_e64 s12, 0, v1
	v_ashrrev_i32_e32 v1, 31, v4
	v_xor_b32_e32 v3, s11, v3
	s_delay_alu instid0(VALU_DEP_4) | instskip(SKIP_1) | instid1(VALU_DEP_4)
	v_and_b32_e32 v0, v0, v2
	v_lshrrev_b32_e32 v2, 4, v26
	v_xor_b32_e32 v1, s12, v1
	s_delay_alu instid0(VALU_DEP_3) | instskip(NEXT) | instid1(VALU_DEP_1)
	v_and_b32_e32 v0, v0, v3
	v_and_b32_e32 v0, v0, v1
	s_delay_alu instid0(VALU_DEP_4) | instskip(NEXT) | instid1(VALU_DEP_2)
	v_and_b32_e32 v1, 0xff0, v2
	v_mbcnt_lo_u32_b32 v27, v0, 0
	s_delay_alu instid0(VALU_DEP_2) | instskip(SKIP_1) | instid1(VALU_DEP_3)
	v_add_nc_u32_e32 v1, v1, v24
	v_cmp_ne_u32_e64 s12, 0, v0
	v_cmp_eq_u32_e64 s11, 0, v27
	s_delay_alu instid0(VALU_DEP_3) | instskip(NEXT) | instid1(VALU_DEP_2)
	v_lshl_add_u32 v28, v1, 2, 64
	s_and_b32 s12, s12, s11
	s_delay_alu instid0(SALU_CYCLE_1)
	s_and_saveexec_b32 s11, s12
	s_cbranch_execz .LBB42_14
; %bb.13:                               ;   in Loop: Header=BB42_2 Depth=1
	v_bcnt_u32_b32 v0, v0, 0
	ds_store_b32 v28, v0
.LBB42_14:                              ;   in Loop: Header=BB42_2 Depth=1
	s_or_b32 exec_lo, exec_lo, s11
	; wave barrier
	s_waitcnt lgkmcnt(0)
	s_barrier
	buffer_gl0_inv
	ds_load_2addr_b64 v[4:7], v16 offset0:8 offset1:9
	ds_load_2addr_b64 v[0:3], v17 offset0:2 offset1:3
	s_waitcnt lgkmcnt(1)
	v_add_nc_u32_e32 v29, v5, v4
	s_delay_alu instid0(VALU_DEP_1) | instskip(SKIP_1) | instid1(VALU_DEP_1)
	v_add3_u32 v29, v29, v6, v7
	s_waitcnt lgkmcnt(0)
	v_add3_u32 v29, v29, v0, v1
	s_delay_alu instid0(VALU_DEP_1) | instskip(NEXT) | instid1(VALU_DEP_1)
	v_add3_u32 v3, v29, v2, v3
	v_mov_b32_dpp v29, v3 row_shr:1 row_mask:0xf bank_mask:0xf
	s_delay_alu instid0(VALU_DEP_1) | instskip(NEXT) | instid1(VALU_DEP_1)
	v_cndmask_b32_e64 v29, v29, 0, s1
	v_add_nc_u32_e32 v3, v29, v3
	s_delay_alu instid0(VALU_DEP_1) | instskip(NEXT) | instid1(VALU_DEP_1)
	v_mov_b32_dpp v29, v3 row_shr:2 row_mask:0xf bank_mask:0xf
	v_cndmask_b32_e64 v29, 0, v29, s2
	s_delay_alu instid0(VALU_DEP_1) | instskip(NEXT) | instid1(VALU_DEP_1)
	v_add_nc_u32_e32 v3, v3, v29
	v_mov_b32_dpp v29, v3 row_shr:4 row_mask:0xf bank_mask:0xf
	s_delay_alu instid0(VALU_DEP_1) | instskip(NEXT) | instid1(VALU_DEP_1)
	v_cndmask_b32_e64 v29, 0, v29, s3
	v_add_nc_u32_e32 v3, v3, v29
	s_delay_alu instid0(VALU_DEP_1) | instskip(NEXT) | instid1(VALU_DEP_1)
	v_mov_b32_dpp v29, v3 row_shr:8 row_mask:0xf bank_mask:0xf
	v_cndmask_b32_e64 v29, 0, v29, s4
	s_delay_alu instid0(VALU_DEP_1) | instskip(SKIP_3) | instid1(VALU_DEP_1)
	v_add_nc_u32_e32 v3, v3, v29
	ds_swizzle_b32 v29, v3 offset:swizzle(BROADCAST,32,15)
	s_waitcnt lgkmcnt(0)
	v_cndmask_b32_e64 v29, v29, 0, s5
	v_add_nc_u32_e32 v3, v3, v29
	s_and_saveexec_b32 s11, s10
	s_cbranch_execz .LBB42_16
; %bb.15:                               ;   in Loop: Header=BB42_2 Depth=1
	ds_store_b32 v18, v3
.LBB42_16:                              ;   in Loop: Header=BB42_2 Depth=1
	s_or_b32 exec_lo, exec_lo, s11
	s_waitcnt lgkmcnt(0)
	s_barrier
	buffer_gl0_inv
	s_and_saveexec_b32 s11, s6
	s_cbranch_execz .LBB42_18
; %bb.17:                               ;   in Loop: Header=BB42_2 Depth=1
	ds_load_b32 v29, v19
	s_waitcnt lgkmcnt(0)
	v_mov_b32_dpp v30, v29 row_shr:1 row_mask:0xf bank_mask:0xf
	s_delay_alu instid0(VALU_DEP_1) | instskip(NEXT) | instid1(VALU_DEP_1)
	v_cndmask_b32_e64 v30, v30, 0, s1
	v_add_nc_u32_e32 v29, v30, v29
	s_delay_alu instid0(VALU_DEP_1) | instskip(NEXT) | instid1(VALU_DEP_1)
	v_mov_b32_dpp v30, v29 row_shr:2 row_mask:0xf bank_mask:0xf
	v_cndmask_b32_e64 v30, 0, v30, s2
	s_delay_alu instid0(VALU_DEP_1) | instskip(NEXT) | instid1(VALU_DEP_1)
	v_add_nc_u32_e32 v29, v29, v30
	v_mov_b32_dpp v30, v29 row_shr:4 row_mask:0xf bank_mask:0xf
	s_delay_alu instid0(VALU_DEP_1) | instskip(NEXT) | instid1(VALU_DEP_1)
	v_cndmask_b32_e64 v30, 0, v30, s3
	v_add_nc_u32_e32 v29, v29, v30
	s_delay_alu instid0(VALU_DEP_1) | instskip(NEXT) | instid1(VALU_DEP_1)
	v_mov_b32_dpp v30, v29 row_shr:8 row_mask:0xf bank_mask:0xf
	v_cndmask_b32_e64 v30, 0, v30, s4
	s_delay_alu instid0(VALU_DEP_1)
	v_add_nc_u32_e32 v29, v29, v30
	ds_store_b32 v19, v29
.LBB42_18:                              ;   in Loop: Header=BB42_2 Depth=1
	s_or_b32 exec_lo, exec_lo, s11
	v_mov_b32_e32 v29, 0
	s_waitcnt lgkmcnt(0)
	s_barrier
	buffer_gl0_inv
	s_and_saveexec_b32 s11, s7
	s_cbranch_execz .LBB42_20
; %bb.19:                               ;   in Loop: Header=BB42_2 Depth=1
	ds_load_b32 v29, v21
.LBB42_20:                              ;   in Loop: Header=BB42_2 Depth=1
	s_or_b32 exec_lo, exec_lo, s11
	s_waitcnt lgkmcnt(0)
	v_add_nc_u32_e32 v3, v29, v3
	ds_bpermute_b32 v3, v20, v3
	s_waitcnt lgkmcnt(0)
	v_cndmask_b32_e64 v3, v3, v29, s0
	s_delay_alu instid0(VALU_DEP_1) | instskip(NEXT) | instid1(VALU_DEP_1)
	v_cndmask_b32_e64 v3, v3, 0, s8
	v_add_nc_u32_e32 v4, v3, v4
	s_delay_alu instid0(VALU_DEP_1) | instskip(NEXT) | instid1(VALU_DEP_1)
	v_add_nc_u32_e32 v5, v4, v5
	v_add_nc_u32_e32 v6, v5, v6
	s_delay_alu instid0(VALU_DEP_1) | instskip(NEXT) | instid1(VALU_DEP_1)
	v_add_nc_u32_e32 v29, v6, v7
	;; [unrolled: 3-line block ×3, first 2 shown]
	v_add_nc_u32_e32 v1, v0, v2
	ds_store_2addr_b64 v16, v[3:4], v[5:6] offset0:8 offset1:9
	ds_store_2addr_b64 v17, v[29:30], v[0:1] offset0:2 offset1:3
	s_waitcnt lgkmcnt(0)
	s_barrier
	buffer_gl0_inv
	ds_load_b32 v0, v28
	v_lshlrev_b32_e32 v1, 2, v27
	s_waitcnt lgkmcnt(0)
	s_barrier
	buffer_gl0_inv
	v_lshl_add_u32 v0, v0, 2, v1
	ds_store_b32 v0, v26
	s_waitcnt lgkmcnt(0)
	s_barrier
	buffer_gl0_inv
	ds_load_b32 v26, v22
	s_waitcnt lgkmcnt(0)
	s_barrier
	buffer_gl0_inv
	v_bfe_u32 v0, v26, 16, 1
	v_lshrrev_b32_e32 v1, 16, v26
	s_delay_alu instid0(VALU_DEP_2) | instskip(NEXT) | instid1(VALU_DEP_1)
	v_add_co_u32 v0, s11, v0, -1
	v_cndmask_b32_e64 v2, 0, 1, s11
	s_delay_alu instid0(VALU_DEP_3)
	v_lshlrev_b32_e32 v3, 30, v1
	v_lshlrev_b32_e32 v4, 29, v1
	;; [unrolled: 1-line block ×4, first 2 shown]
	v_cmp_ne_u32_e64 s11, 0, v2
	v_not_b32_e32 v2, v3
	v_cmp_gt_i32_e64 s12, 0, v3
	v_not_b32_e32 v3, v4
	v_lshlrev_b32_e32 v7, 26, v1
	v_xor_b32_e32 v0, s11, v0
	v_ashrrev_i32_e32 v2, 31, v2
	v_cmp_gt_i32_e64 s11, 0, v4
	v_not_b32_e32 v4, v5
	v_ashrrev_i32_e32 v3, 31, v3
	v_and_b32_e32 v0, exec_lo, v0
	v_xor_b32_e32 v2, s12, v2
	v_cmp_gt_i32_e64 s12, 0, v5
	v_not_b32_e32 v5, v6
	v_ashrrev_i32_e32 v4, 31, v4
	v_xor_b32_e32 v3, s11, v3
	v_and_b32_e32 v0, v0, v2
	v_lshlrev_b32_e32 v27, 25, v1
	v_cmp_gt_i32_e64 s11, 0, v6
	v_not_b32_e32 v2, v7
	v_ashrrev_i32_e32 v5, 31, v5
	v_xor_b32_e32 v4, s12, v4
	v_and_b32_e32 v0, v0, v3
	v_lshlrev_b32_e32 v1, 24, v1
	v_cmp_gt_i32_e64 s12, 0, v7
	v_not_b32_e32 v3, v27
	v_ashrrev_i32_e32 v2, 31, v2
	v_xor_b32_e32 v5, s11, v5
	v_and_b32_e32 v0, v0, v4
	v_cmp_gt_i32_e64 s11, 0, v27
	v_not_b32_e32 v4, v1
	v_ashrrev_i32_e32 v3, 31, v3
	v_xor_b32_e32 v2, s12, v2
	v_and_b32_e32 v0, v0, v5
	v_cmp_gt_i32_e64 s12, 0, v1
	v_ashrrev_i32_e32 v1, 31, v4
	v_xor_b32_e32 v3, s11, v3
	v_lshrrev_b32_e32 v6, 12, v26
	v_and_b32_e32 v0, v0, v2
	s_delay_alu instid0(VALU_DEP_4) | instskip(SKIP_1) | instid1(VALU_DEP_3)
	v_xor_b32_e32 v5, s12, v1
	v_dual_mov_b32 v1, s14 :: v_dual_mov_b32 v2, s15
	v_dual_mov_b32 v3, s16 :: v_dual_and_b32 v0, v0, v3
	v_mov_b32_e32 v4, s17
	ds_store_2addr_b64 v16, v[1:2], v[3:4] offset0:8 offset1:9
	ds_store_2addr_b64 v17, v[1:2], v[3:4] offset0:2 offset1:3
	v_and_b32_e32 v0, v0, v5
	v_and_b32_e32 v5, 0xff0, v6
	s_waitcnt lgkmcnt(0)
	s_barrier
	buffer_gl0_inv
	v_mbcnt_lo_u32_b32 v27, v0, 0
	v_add_nc_u32_e32 v1, v5, v24
	v_cmp_ne_u32_e64 s12, 0, v0
	; wave barrier
	s_delay_alu instid0(VALU_DEP_3) | instskip(NEXT) | instid1(VALU_DEP_3)
	v_cmp_eq_u32_e64 s11, 0, v27
	v_lshl_add_u32 v28, v1, 2, 64
	s_delay_alu instid0(VALU_DEP_2) | instskip(NEXT) | instid1(SALU_CYCLE_1)
	s_and_b32 s12, s12, s11
	s_and_saveexec_b32 s11, s12
	s_cbranch_execz .LBB42_22
; %bb.21:                               ;   in Loop: Header=BB42_2 Depth=1
	v_bcnt_u32_b32 v0, v0, 0
	ds_store_b32 v28, v0
.LBB42_22:                              ;   in Loop: Header=BB42_2 Depth=1
	s_or_b32 exec_lo, exec_lo, s11
	; wave barrier
	s_waitcnt lgkmcnt(0)
	s_barrier
	buffer_gl0_inv
	ds_load_2addr_b64 v[4:7], v16 offset0:8 offset1:9
	ds_load_2addr_b64 v[0:3], v17 offset0:2 offset1:3
	s_waitcnt lgkmcnt(1)
	v_add_nc_u32_e32 v29, v5, v4
	s_delay_alu instid0(VALU_DEP_1) | instskip(SKIP_1) | instid1(VALU_DEP_1)
	v_add3_u32 v29, v29, v6, v7
	s_waitcnt lgkmcnt(0)
	v_add3_u32 v29, v29, v0, v1
	s_delay_alu instid0(VALU_DEP_1) | instskip(NEXT) | instid1(VALU_DEP_1)
	v_add3_u32 v3, v29, v2, v3
	v_mov_b32_dpp v29, v3 row_shr:1 row_mask:0xf bank_mask:0xf
	s_delay_alu instid0(VALU_DEP_1) | instskip(NEXT) | instid1(VALU_DEP_1)
	v_cndmask_b32_e64 v29, v29, 0, s1
	v_add_nc_u32_e32 v3, v29, v3
	s_delay_alu instid0(VALU_DEP_1) | instskip(NEXT) | instid1(VALU_DEP_1)
	v_mov_b32_dpp v29, v3 row_shr:2 row_mask:0xf bank_mask:0xf
	v_cndmask_b32_e64 v29, 0, v29, s2
	s_delay_alu instid0(VALU_DEP_1) | instskip(NEXT) | instid1(VALU_DEP_1)
	v_add_nc_u32_e32 v3, v3, v29
	v_mov_b32_dpp v29, v3 row_shr:4 row_mask:0xf bank_mask:0xf
	s_delay_alu instid0(VALU_DEP_1) | instskip(NEXT) | instid1(VALU_DEP_1)
	v_cndmask_b32_e64 v29, 0, v29, s3
	v_add_nc_u32_e32 v3, v3, v29
	s_delay_alu instid0(VALU_DEP_1) | instskip(NEXT) | instid1(VALU_DEP_1)
	v_mov_b32_dpp v29, v3 row_shr:8 row_mask:0xf bank_mask:0xf
	v_cndmask_b32_e64 v29, 0, v29, s4
	s_delay_alu instid0(VALU_DEP_1) | instskip(SKIP_3) | instid1(VALU_DEP_1)
	v_add_nc_u32_e32 v3, v3, v29
	ds_swizzle_b32 v29, v3 offset:swizzle(BROADCAST,32,15)
	s_waitcnt lgkmcnt(0)
	v_cndmask_b32_e64 v29, v29, 0, s5
	v_add_nc_u32_e32 v3, v3, v29
	s_and_saveexec_b32 s11, s10
	s_cbranch_execz .LBB42_24
; %bb.23:                               ;   in Loop: Header=BB42_2 Depth=1
	ds_store_b32 v18, v3
.LBB42_24:                              ;   in Loop: Header=BB42_2 Depth=1
	s_or_b32 exec_lo, exec_lo, s11
	s_waitcnt lgkmcnt(0)
	s_barrier
	buffer_gl0_inv
	s_and_saveexec_b32 s11, s6
	s_cbranch_execz .LBB42_26
; %bb.25:                               ;   in Loop: Header=BB42_2 Depth=1
	ds_load_b32 v29, v19
	s_waitcnt lgkmcnt(0)
	v_mov_b32_dpp v30, v29 row_shr:1 row_mask:0xf bank_mask:0xf
	s_delay_alu instid0(VALU_DEP_1) | instskip(NEXT) | instid1(VALU_DEP_1)
	v_cndmask_b32_e64 v30, v30, 0, s1
	v_add_nc_u32_e32 v29, v30, v29
	s_delay_alu instid0(VALU_DEP_1) | instskip(NEXT) | instid1(VALU_DEP_1)
	v_mov_b32_dpp v30, v29 row_shr:2 row_mask:0xf bank_mask:0xf
	v_cndmask_b32_e64 v30, 0, v30, s2
	s_delay_alu instid0(VALU_DEP_1) | instskip(NEXT) | instid1(VALU_DEP_1)
	v_add_nc_u32_e32 v29, v29, v30
	v_mov_b32_dpp v30, v29 row_shr:4 row_mask:0xf bank_mask:0xf
	s_delay_alu instid0(VALU_DEP_1) | instskip(NEXT) | instid1(VALU_DEP_1)
	v_cndmask_b32_e64 v30, 0, v30, s3
	v_add_nc_u32_e32 v29, v29, v30
	s_delay_alu instid0(VALU_DEP_1) | instskip(NEXT) | instid1(VALU_DEP_1)
	v_mov_b32_dpp v30, v29 row_shr:8 row_mask:0xf bank_mask:0xf
	v_cndmask_b32_e64 v30, 0, v30, s4
	s_delay_alu instid0(VALU_DEP_1)
	v_add_nc_u32_e32 v29, v29, v30
	ds_store_b32 v19, v29
.LBB42_26:                              ;   in Loop: Header=BB42_2 Depth=1
	s_or_b32 exec_lo, exec_lo, s11
	v_mov_b32_e32 v29, 0
	s_waitcnt lgkmcnt(0)
	s_barrier
	buffer_gl0_inv
	s_and_saveexec_b32 s11, s7
	s_cbranch_execz .LBB42_28
; %bb.27:                               ;   in Loop: Header=BB42_2 Depth=1
	ds_load_b32 v29, v21
.LBB42_28:                              ;   in Loop: Header=BB42_2 Depth=1
	s_or_b32 exec_lo, exec_lo, s11
	s_waitcnt lgkmcnt(0)
	v_add_nc_u32_e32 v3, v29, v3
	ds_bpermute_b32 v3, v20, v3
	s_waitcnt lgkmcnt(0)
	v_cndmask_b32_e64 v3, v3, v29, s0
	s_delay_alu instid0(VALU_DEP_1) | instskip(NEXT) | instid1(VALU_DEP_1)
	v_cndmask_b32_e64 v3, v3, 0, s8
	v_add_nc_u32_e32 v4, v3, v4
	s_delay_alu instid0(VALU_DEP_1) | instskip(NEXT) | instid1(VALU_DEP_1)
	v_add_nc_u32_e32 v5, v4, v5
	v_add_nc_u32_e32 v6, v5, v6
	s_delay_alu instid0(VALU_DEP_1) | instskip(NEXT) | instid1(VALU_DEP_1)
	v_add_nc_u32_e32 v29, v6, v7
	;; [unrolled: 3-line block ×3, first 2 shown]
	v_add_nc_u32_e32 v1, v0, v2
	ds_store_2addr_b64 v16, v[3:4], v[5:6] offset0:8 offset1:9
	ds_store_2addr_b64 v17, v[29:30], v[0:1] offset0:2 offset1:3
	s_waitcnt lgkmcnt(0)
	s_barrier
	buffer_gl0_inv
	ds_load_b32 v0, v28
	v_lshlrev_b32_e32 v1, 2, v27
	s_waitcnt lgkmcnt(0)
	s_barrier
	buffer_gl0_inv
	v_lshl_add_u32 v0, v0, 2, v1
	ds_store_b32 v0, v26
	s_waitcnt lgkmcnt(0)
	s_barrier
	buffer_gl0_inv
	ds_load_b32 v26, v22
	s_waitcnt lgkmcnt(0)
	s_barrier
	buffer_gl0_inv
	v_bfe_u32 v0, v26, 24, 1
	v_lshrrev_b32_e32 v5, 24, v26
	s_delay_alu instid0(VALU_DEP_2) | instskip(NEXT) | instid1(VALU_DEP_1)
	v_add_co_u32 v0, s11, v0, -1
	v_cndmask_b32_e64 v1, 0, 1, s11
	s_delay_alu instid0(VALU_DEP_3)
	v_lshlrev_b32_e32 v2, 30, v5
	v_lshlrev_b32_e32 v3, 29, v5
	;; [unrolled: 1-line block ×4, first 2 shown]
	v_cmp_ne_u32_e64 s11, 0, v1
	v_not_b32_e32 v1, v2
	v_cmp_gt_i32_e64 s12, 0, v2
	v_not_b32_e32 v2, v3
	v_lshlrev_b32_e32 v7, 26, v5
	v_xor_b32_e32 v0, s11, v0
	v_ashrrev_i32_e32 v1, 31, v1
	v_cmp_gt_i32_e64 s11, 0, v3
	v_not_b32_e32 v3, v4
	v_ashrrev_i32_e32 v2, 31, v2
	v_and_b32_e32 v0, exec_lo, v0
	v_xor_b32_e32 v1, s12, v1
	v_cmp_gt_i32_e64 s12, 0, v4
	v_not_b32_e32 v4, v6
	v_ashrrev_i32_e32 v3, 31, v3
	v_xor_b32_e32 v2, s11, v2
	v_and_b32_e32 v0, v0, v1
	v_lshlrev_b32_e32 v27, 25, v5
	v_cmp_gt_i32_e64 s11, 0, v6
	v_not_b32_e32 v1, v7
	v_ashrrev_i32_e32 v4, 31, v4
	v_xor_b32_e32 v3, s12, v3
	v_and_b32_e32 v0, v0, v2
	v_cmp_gt_i32_e64 s12, 0, v7
	v_not_b32_e32 v2, v27
	v_ashrrev_i32_e32 v1, 31, v1
	v_xor_b32_e32 v4, s11, v4
	v_and_b32_e32 v0, v0, v3
	v_not_b32_e32 v3, v26
	v_cmp_gt_i32_e64 s11, 0, v27
	v_ashrrev_i32_e32 v2, 31, v2
	v_xor_b32_e32 v1, s12, v1
	v_and_b32_e32 v0, v0, v4
	v_cmp_gt_i32_e64 s12, 0, v26
	v_ashrrev_i32_e32 v3, 31, v3
	v_xor_b32_e32 v2, s11, v2
	s_delay_alu instid0(VALU_DEP_4) | instskip(NEXT) | instid1(VALU_DEP_3)
	v_and_b32_e32 v0, v0, v1
	v_xor_b32_e32 v3, s12, v3
	s_delay_alu instid0(VALU_DEP_2) | instskip(SKIP_1) | instid1(VALU_DEP_2)
	v_dual_mov_b32 v1, s14 :: v_dual_and_b32 v0, v0, v2
	v_mov_b32_e32 v2, s15
	v_dual_mov_b32 v3, s16 :: v_dual_and_b32 v0, v0, v3
	v_mov_b32_e32 v4, s17
	ds_store_2addr_b64 v16, v[1:2], v[3:4] offset0:8 offset1:9
	ds_store_2addr_b64 v17, v[1:2], v[3:4] offset0:2 offset1:3
	v_mbcnt_lo_u32_b32 v27, v0, 0
	v_lshl_add_u32 v1, v5, 4, v24
	v_cmp_ne_u32_e64 s12, 0, v0
	s_waitcnt lgkmcnt(0)
	s_barrier
	v_cmp_eq_u32_e64 s11, 0, v27
	v_lshl_add_u32 v28, v1, 2, 64
	buffer_gl0_inv
	; wave barrier
	s_and_b32 s12, s12, s11
	s_delay_alu instid0(SALU_CYCLE_1)
	s_and_saveexec_b32 s11, s12
	s_cbranch_execz .LBB42_30
; %bb.29:                               ;   in Loop: Header=BB42_2 Depth=1
	v_bcnt_u32_b32 v0, v0, 0
	ds_store_b32 v28, v0
.LBB42_30:                              ;   in Loop: Header=BB42_2 Depth=1
	s_or_b32 exec_lo, exec_lo, s11
	; wave barrier
	s_waitcnt lgkmcnt(0)
	s_barrier
	buffer_gl0_inv
	ds_load_2addr_b64 v[4:7], v16 offset0:8 offset1:9
	ds_load_2addr_b64 v[0:3], v17 offset0:2 offset1:3
	s_waitcnt lgkmcnt(1)
	v_add_nc_u32_e32 v29, v5, v4
	s_delay_alu instid0(VALU_DEP_1) | instskip(SKIP_1) | instid1(VALU_DEP_1)
	v_add3_u32 v29, v29, v6, v7
	s_waitcnt lgkmcnt(0)
	v_add3_u32 v29, v29, v0, v1
	s_delay_alu instid0(VALU_DEP_1) | instskip(NEXT) | instid1(VALU_DEP_1)
	v_add3_u32 v3, v29, v2, v3
	v_mov_b32_dpp v29, v3 row_shr:1 row_mask:0xf bank_mask:0xf
	s_delay_alu instid0(VALU_DEP_1) | instskip(NEXT) | instid1(VALU_DEP_1)
	v_cndmask_b32_e64 v29, v29, 0, s1
	v_add_nc_u32_e32 v3, v29, v3
	s_delay_alu instid0(VALU_DEP_1) | instskip(NEXT) | instid1(VALU_DEP_1)
	v_mov_b32_dpp v29, v3 row_shr:2 row_mask:0xf bank_mask:0xf
	v_cndmask_b32_e64 v29, 0, v29, s2
	s_delay_alu instid0(VALU_DEP_1) | instskip(NEXT) | instid1(VALU_DEP_1)
	v_add_nc_u32_e32 v3, v3, v29
	v_mov_b32_dpp v29, v3 row_shr:4 row_mask:0xf bank_mask:0xf
	s_delay_alu instid0(VALU_DEP_1) | instskip(NEXT) | instid1(VALU_DEP_1)
	v_cndmask_b32_e64 v29, 0, v29, s3
	v_add_nc_u32_e32 v3, v3, v29
	s_delay_alu instid0(VALU_DEP_1) | instskip(NEXT) | instid1(VALU_DEP_1)
	v_mov_b32_dpp v29, v3 row_shr:8 row_mask:0xf bank_mask:0xf
	v_cndmask_b32_e64 v29, 0, v29, s4
	s_delay_alu instid0(VALU_DEP_1) | instskip(SKIP_3) | instid1(VALU_DEP_1)
	v_add_nc_u32_e32 v3, v3, v29
	ds_swizzle_b32 v29, v3 offset:swizzle(BROADCAST,32,15)
	s_waitcnt lgkmcnt(0)
	v_cndmask_b32_e64 v29, v29, 0, s5
	v_add_nc_u32_e32 v3, v3, v29
	s_and_saveexec_b32 s11, s10
	s_cbranch_execz .LBB42_32
; %bb.31:                               ;   in Loop: Header=BB42_2 Depth=1
	ds_store_b32 v18, v3
.LBB42_32:                              ;   in Loop: Header=BB42_2 Depth=1
	s_or_b32 exec_lo, exec_lo, s11
	s_waitcnt lgkmcnt(0)
	s_barrier
	buffer_gl0_inv
	s_and_saveexec_b32 s11, s6
	s_cbranch_execz .LBB42_34
; %bb.33:                               ;   in Loop: Header=BB42_2 Depth=1
	ds_load_b32 v29, v19
	s_waitcnt lgkmcnt(0)
	v_mov_b32_dpp v30, v29 row_shr:1 row_mask:0xf bank_mask:0xf
	s_delay_alu instid0(VALU_DEP_1) | instskip(NEXT) | instid1(VALU_DEP_1)
	v_cndmask_b32_e64 v30, v30, 0, s1
	v_add_nc_u32_e32 v29, v30, v29
	s_delay_alu instid0(VALU_DEP_1) | instskip(NEXT) | instid1(VALU_DEP_1)
	v_mov_b32_dpp v30, v29 row_shr:2 row_mask:0xf bank_mask:0xf
	v_cndmask_b32_e64 v30, 0, v30, s2
	s_delay_alu instid0(VALU_DEP_1) | instskip(NEXT) | instid1(VALU_DEP_1)
	v_add_nc_u32_e32 v29, v29, v30
	v_mov_b32_dpp v30, v29 row_shr:4 row_mask:0xf bank_mask:0xf
	s_delay_alu instid0(VALU_DEP_1) | instskip(NEXT) | instid1(VALU_DEP_1)
	v_cndmask_b32_e64 v30, 0, v30, s3
	v_add_nc_u32_e32 v29, v29, v30
	s_delay_alu instid0(VALU_DEP_1) | instskip(NEXT) | instid1(VALU_DEP_1)
	v_mov_b32_dpp v30, v29 row_shr:8 row_mask:0xf bank_mask:0xf
	v_cndmask_b32_e64 v30, 0, v30, s4
	s_delay_alu instid0(VALU_DEP_1)
	v_add_nc_u32_e32 v29, v29, v30
	ds_store_b32 v19, v29
.LBB42_34:                              ;   in Loop: Header=BB42_2 Depth=1
	s_or_b32 exec_lo, exec_lo, s11
	v_mov_b32_e32 v29, 0
	s_waitcnt lgkmcnt(0)
	s_barrier
	buffer_gl0_inv
	s_and_saveexec_b32 s11, s7
	s_cbranch_execz .LBB42_36
; %bb.35:                               ;   in Loop: Header=BB42_2 Depth=1
	ds_load_b32 v29, v21
.LBB42_36:                              ;   in Loop: Header=BB42_2 Depth=1
	s_or_b32 exec_lo, exec_lo, s11
	s_waitcnt lgkmcnt(0)
	v_add_nc_u32_e32 v3, v29, v3
	ds_bpermute_b32 v3, v20, v3
	s_waitcnt lgkmcnt(0)
	v_cndmask_b32_e64 v3, v3, v29, s0
	s_delay_alu instid0(VALU_DEP_1) | instskip(NEXT) | instid1(VALU_DEP_1)
	v_cndmask_b32_e64 v3, v3, 0, s8
	v_add_nc_u32_e32 v4, v3, v4
	s_delay_alu instid0(VALU_DEP_1) | instskip(NEXT) | instid1(VALU_DEP_1)
	v_add_nc_u32_e32 v5, v4, v5
	v_add_nc_u32_e32 v6, v5, v6
	s_delay_alu instid0(VALU_DEP_1) | instskip(NEXT) | instid1(VALU_DEP_1)
	v_add_nc_u32_e32 v29, v6, v7
	;; [unrolled: 3-line block ×3, first 2 shown]
	v_add_nc_u32_e32 v1, v0, v2
	ds_store_2addr_b64 v16, v[3:4], v[5:6] offset0:8 offset1:9
	ds_store_2addr_b64 v17, v[29:30], v[0:1] offset0:2 offset1:3
	s_waitcnt lgkmcnt(0)
	s_barrier
	buffer_gl0_inv
	ds_load_b32 v0, v28
	v_lshlrev_b32_e32 v1, 2, v27
	s_waitcnt lgkmcnt(0)
	s_barrier
	buffer_gl0_inv
	v_lshl_add_u32 v0, v0, 2, v1
	ds_store_b32 v0, v26
	s_waitcnt lgkmcnt(0)
	s_barrier
	buffer_gl0_inv
	ds_load_b32 v26, v19
	s_waitcnt lgkmcnt(0)
	s_barrier
	buffer_gl0_inv
	s_and_saveexec_b32 s11, vcc_lo
	s_cbranch_execz .LBB42_38
; %bb.37:                               ;   in Loop: Header=BB42_2 Depth=1
	ds_store_2addr_stride64_b32 v19, v25, v25 offset0:16 offset1:24
.LBB42_38:                              ;   in Loop: Header=BB42_2 Depth=1
	s_or_b32 exec_lo, exec_lo, s11
	v_xor_b32_e32 v0, 0x80000000, v26
	s_waitcnt lgkmcnt(0)
	s_barrier
	buffer_gl0_inv
	ds_store_b32 v19, v0
	s_waitcnt lgkmcnt(0)
	s_barrier
	buffer_gl0_inv
	s_and_saveexec_b32 s12, s9
	s_cbranch_execz .LBB42_41
; %bb.39:                               ;   in Loop: Header=BB42_2 Depth=1
	ds_load_b32 v1, v23
	s_waitcnt lgkmcnt(0)
	v_cmp_ne_u32_e64 s11, v1, v0
	s_delay_alu instid0(VALU_DEP_1)
	s_and_b32 exec_lo, exec_lo, s11
	s_cbranch_execz .LBB42_41
; %bb.40:                               ;   in Loop: Header=BB42_2 Depth=1
	v_lshlrev_b32_e32 v1, 2, v0
	ds_store_b32 v1, v10 offset:4096
	ds_load_b32 v1, v23
	s_waitcnt lgkmcnt(0)
	v_lshlrev_b32_e32 v1, 2, v1
	ds_store_b32 v1, v10 offset:6144
.LBB42_41:                              ;   in Loop: Header=BB42_2 Depth=1
	s_or_b32 exec_lo, exec_lo, s12
	s_waitcnt lgkmcnt(0)
	s_barrier
	buffer_gl0_inv
	s_and_saveexec_b32 s11, s8
	s_cbranch_execz .LBB42_43
; %bb.42:                               ;   in Loop: Header=BB42_2 Depth=1
	v_lshlrev_b32_e32 v0, 2, v0
	ds_store_b32 v0, v9 offset:4096
.LBB42_43:                              ;   in Loop: Header=BB42_2 Depth=1
	s_or_b32 exec_lo, exec_lo, s11
	s_waitcnt lgkmcnt(0)
	s_barrier
	buffer_gl0_inv
	s_and_saveexec_b32 s11, vcc_lo
	s_cbranch_execz .LBB42_1
; %bb.44:                               ;   in Loop: Header=BB42_2 Depth=1
	ds_load_2addr_stride64_b32 v[0:1], v19 offset0:16 offset1:24
	ds_load_b32 v2, v15
	s_waitcnt lgkmcnt(1)
	v_sub_nc_u32_e32 v0, v1, v0
	s_waitcnt lgkmcnt(0)
	s_delay_alu instid0(VALU_DEP_1)
	v_add_nc_u32_e32 v0, v0, v2
	ds_store_b32 v15, v0
	s_branch .LBB42_1
.LBB42_45:
	s_and_saveexec_b32 s0, vcc_lo
	s_cbranch_execz .LBB42_47
; %bb.46:
	ds_load_b32 v2, v15
	v_mov_b32_e32 v9, 0
	s_delay_alu instid0(VALU_DEP_1) | instskip(NEXT) | instid1(VALU_DEP_1)
	v_lshlrev_b64 v[0:1], 2, v[8:9]
	v_add_co_u32 v0, vcc_lo, s18, v0
	s_delay_alu instid0(VALU_DEP_2)
	v_add_co_ci_u32_e32 v1, vcc_lo, s19, v1, vcc_lo
	s_waitcnt lgkmcnt(0)
	global_store_b32 v[0:1], v2, off
.LBB42_47:
	s_nop 0
	s_sendmsg sendmsg(MSG_DEALLOC_VGPRS)
	s_endpgm
	.section	.rodata,"a",@progbits
	.p2align	6, 0x0
	.amdhsa_kernel _Z6kernelI9histogramILN6hipcub23BlockHistogramAlgorithmE1EEiLj512ELj1ELj512ELj100EEvPKT0_PS4_
		.amdhsa_group_segment_fixed_size 18496
		.amdhsa_private_segment_fixed_size 0
		.amdhsa_kernarg_size 272
		.amdhsa_user_sgpr_count 15
		.amdhsa_user_sgpr_dispatch_ptr 0
		.amdhsa_user_sgpr_queue_ptr 0
		.amdhsa_user_sgpr_kernarg_segment_ptr 1
		.amdhsa_user_sgpr_dispatch_id 0
		.amdhsa_user_sgpr_private_segment_size 0
		.amdhsa_wavefront_size32 1
		.amdhsa_uses_dynamic_stack 0
		.amdhsa_enable_private_segment 0
		.amdhsa_system_sgpr_workgroup_id_x 1
		.amdhsa_system_sgpr_workgroup_id_y 0
		.amdhsa_system_sgpr_workgroup_id_z 0
		.amdhsa_system_sgpr_workgroup_info 0
		.amdhsa_system_vgpr_workitem_id 2
		.amdhsa_next_free_vgpr 31
		.amdhsa_next_free_sgpr 21
		.amdhsa_reserve_vcc 1
		.amdhsa_float_round_mode_32 0
		.amdhsa_float_round_mode_16_64 0
		.amdhsa_float_denorm_mode_32 3
		.amdhsa_float_denorm_mode_16_64 3
		.amdhsa_dx10_clamp 1
		.amdhsa_ieee_mode 1
		.amdhsa_fp16_overflow 0
		.amdhsa_workgroup_processor_mode 1
		.amdhsa_memory_ordered 1
		.amdhsa_forward_progress 0
		.amdhsa_shared_vgpr_count 0
		.amdhsa_exception_fp_ieee_invalid_op 0
		.amdhsa_exception_fp_denorm_src 0
		.amdhsa_exception_fp_ieee_div_zero 0
		.amdhsa_exception_fp_ieee_overflow 0
		.amdhsa_exception_fp_ieee_underflow 0
		.amdhsa_exception_fp_ieee_inexact 0
		.amdhsa_exception_int_div_zero 0
	.end_amdhsa_kernel
	.section	.text._Z6kernelI9histogramILN6hipcub23BlockHistogramAlgorithmE1EEiLj512ELj1ELj512ELj100EEvPKT0_PS4_,"axG",@progbits,_Z6kernelI9histogramILN6hipcub23BlockHistogramAlgorithmE1EEiLj512ELj1ELj512ELj100EEvPKT0_PS4_,comdat
.Lfunc_end42:
	.size	_Z6kernelI9histogramILN6hipcub23BlockHistogramAlgorithmE1EEiLj512ELj1ELj512ELj100EEvPKT0_PS4_, .Lfunc_end42-_Z6kernelI9histogramILN6hipcub23BlockHistogramAlgorithmE1EEiLj512ELj1ELj512ELj100EEvPKT0_PS4_
                                        ; -- End function
	.section	.AMDGPU.csdata,"",@progbits
; Kernel info:
; codeLenInByte = 4744
; NumSgprs: 23
; NumVgprs: 31
; ScratchSize: 0
; MemoryBound: 0
; FloatMode: 240
; IeeeMode: 1
; LDSByteSize: 18496 bytes/workgroup (compile time only)
; SGPRBlocks: 2
; VGPRBlocks: 3
; NumSGPRsForWavesPerEU: 23
; NumVGPRsForWavesPerEU: 31
; Occupancy: 16
; WaveLimiterHint : 0
; COMPUTE_PGM_RSRC2:SCRATCH_EN: 0
; COMPUTE_PGM_RSRC2:USER_SGPR: 15
; COMPUTE_PGM_RSRC2:TRAP_HANDLER: 0
; COMPUTE_PGM_RSRC2:TGID_X_EN: 1
; COMPUTE_PGM_RSRC2:TGID_Y_EN: 0
; COMPUTE_PGM_RSRC2:TGID_Z_EN: 0
; COMPUTE_PGM_RSRC2:TIDIG_COMP_CNT: 2
	.section	.text._Z6kernelI9histogramILN6hipcub23BlockHistogramAlgorithmE1EEiLj512ELj2ELj512ELj100EEvPKT0_PS4_,"axG",@progbits,_Z6kernelI9histogramILN6hipcub23BlockHistogramAlgorithmE1EEiLj512ELj2ELj512ELj100EEvPKT0_PS4_,comdat
	.protected	_Z6kernelI9histogramILN6hipcub23BlockHistogramAlgorithmE1EEiLj512ELj2ELj512ELj100EEvPKT0_PS4_ ; -- Begin function _Z6kernelI9histogramILN6hipcub23BlockHistogramAlgorithmE1EEiLj512ELj2ELj512ELj100EEvPKT0_PS4_
	.globl	_Z6kernelI9histogramILN6hipcub23BlockHistogramAlgorithmE1EEiLj512ELj2ELj512ELj100EEvPKT0_PS4_
	.p2align	8
	.type	_Z6kernelI9histogramILN6hipcub23BlockHistogramAlgorithmE1EEiLj512ELj2ELj512ELj100EEvPKT0_PS4_,@function
_Z6kernelI9histogramILN6hipcub23BlockHistogramAlgorithmE1EEiLj512ELj2ELj512ELj100EEvPKT0_PS4_: ; @_Z6kernelI9histogramILN6hipcub23BlockHistogramAlgorithmE1EEiLj512ELj2ELj512ELj100EEvPKT0_PS4_
; %bb.0:
	v_and_b32_e32 v8, 0x3ff, v0
	s_clause 0x1
	s_load_b128 s[16:19], s[0:1], 0x0
	s_load_b32 s1, s[0:1], 0x1c
	v_bfe_u32 v3, v0, 10, 10
	v_bfe_u32 v0, v0, 20, 10
	v_dual_mov_b32 v10, 0 :: v_dual_lshlrev_b32 v15, 1, v8
	v_mbcnt_lo_u32_b32 v5, -1, 0
	v_mov_b32_e32 v29, 0x400
	s_delay_alu instid0(VALU_DEP_3) | instskip(SKIP_1) | instid1(VALU_DEP_4)
	v_lshl_or_b32 v9, s15, 10, v15
	v_or_b32_e32 v27, 1, v15
	v_cmp_eq_u32_e64 s10, 0, v5
	s_delay_alu instid0(VALU_DEP_3) | instskip(SKIP_1) | instid1(VALU_DEP_1)
	v_lshlrev_b64 v[1:2], 2, v[9:10]
	s_waitcnt lgkmcnt(0)
	v_add_co_u32 v1, vcc_lo, s16, v1
	s_delay_alu instid0(VALU_DEP_2)
	v_add_co_ci_u32_e32 v2, vcc_lo, s17, v2, vcc_lo
	s_lshr_b32 s2, s1, 16
	s_and_b32 s1, s1, 0xffff
	v_mad_u32_u24 v0, v0, s2, v3
	global_load_b64 v[1:2], v[1:2], off
	s_mov_b32 s16, 0
	s_delay_alu instid0(SALU_CYCLE_1)
	s_mov_b32 s17, s16
	v_mov_b32_e32 v11, s16
	v_mad_u64_u32 v[3:4], null, v0, s1, v[8:9]
	v_add_nc_u32_e32 v4, -1, v5
	v_and_b32_e32 v0, 15, v5
	s_mov_b32 s20, s16
	s_mov_b32 s21, s16
	v_dual_mov_b32 v13, s20 :: v_dual_lshlrev_b32 v6, 1, v5
	s_delay_alu instid0(VALU_DEP_4) | instskip(SKIP_2) | instid1(VALU_DEP_4)
	v_lshrrev_b32_e32 v19, 5, v3
	v_dual_mov_b32 v14, s21 :: v_dual_and_b32 v3, 16, v5
	v_cmp_gt_i32_e32 vcc_lo, 0, v4
	v_and_b32_e32 v9, 60, v6
	v_lshlrev_b32_e32 v16, 5, v8
	v_cmp_eq_u32_e64 s2, 0, v0
	v_cmp_lt_u32_e64 s3, 1, v0
	v_cmp_lt_u32_e64 s4, 3, v0
	;; [unrolled: 1-line block ×3, first 2 shown]
	v_cmp_eq_u32_e64 s6, 0, v3
	v_cndmask_b32_e32 v0, v4, v5, vcc_lo
	v_lshrrev_b32_e32 v3, 3, v8
	v_dual_mov_b32 v12, s17 :: v_dual_and_b32 v7, 1, v5
	v_or_b32_e32 v6, 31, v8
	s_delay_alu instid0(VALU_DEP_4) | instskip(NEXT) | instid1(VALU_DEP_4)
	v_lshlrev_b32_e32 v21, 2, v0
	v_and_b32_e32 v22, 60, v3
	v_mad_i32_i24 v23, 0xffffffe4, v8, v16
	v_and_or_b32 v0, 0x3c0, v15, v5
	v_lshlrev_b32_e32 v3, 2, v8
	v_cmp_gt_u32_e64 s0, 0x200, v8
	v_cmp_eq_u32_e64 s1, 0, v7
	v_or_b32_e32 v17, 64, v9
	v_add_nc_u32_e32 v18, 64, v16
	v_cmp_eq_u32_e64 s7, v6, v8
	v_cmp_gt_u32_e64 s8, 16, v8
	v_cmp_lt_u32_e64 s9, 31, v8
	v_cmp_eq_u32_e64 s11, 0, v8
	v_cmp_ne_u32_e64 s12, 0, v8
	v_add_nc_u32_e32 v24, -4, v22
	v_lshlrev_b32_e32 v25, 2, v0
	v_add_nc_u32_e32 v26, v23, v3
	v_add_nc_u32_e32 v20, 0x4040, v3
	v_add_nc_u32_e32 v28, -4, v23
	s_branch .LBB43_2
.LBB43_1:                               ;   in Loop: Header=BB43_2 Depth=1
	s_or_b32 exec_lo, exec_lo, s13
	s_add_i32 s16, s16, 1
	s_delay_alu instid0(SALU_CYCLE_1)
	s_cmpk_eq_i32 s16, 0x64
	s_cbranch_scc1 .LBB43_29
.LBB43_2:                               ; =>This Loop Header: Depth=1
                                        ;     Child Loop BB43_6 Depth 2
	s_and_saveexec_b32 s13, s0
	s_cbranch_execz .LBB43_4
; %bb.3:                                ;   in Loop: Header=BB43_2 Depth=1
	ds_store_b32 v20, v10
.LBB43_4:                               ;   in Loop: Header=BB43_2 Depth=1
	s_or_b32 exec_lo, exec_lo, s13
	s_waitcnt vmcnt(0)
	v_xor_b32_e32 v0, 0x80000000, v1
	v_xor_b32_e32 v1, 0x80000000, v2
	s_mov_b32 s14, 0
	s_waitcnt lgkmcnt(0)
	s_barrier
	ds_bpermute_b32 v2, v9, v0
	ds_bpermute_b32 v3, v9, v1
	;; [unrolled: 1-line block ×4, first 2 shown]
	s_waitcnt lgkmcnt(0)
	buffer_gl0_inv
	s_barrier
	v_cndmask_b32_e64 v0, v3, v2, s1
	v_cndmask_b32_e64 v1, v1, v4, s1
	s_branch .LBB43_6
.LBB43_5:                               ;   in Loop: Header=BB43_6 Depth=2
	s_delay_alu instid0(VALU_DEP_2) | instskip(NEXT) | instid1(VALU_DEP_2)
	v_lshlrev_b32_e32 v0, 2, v3
	v_lshlrev_b32_e32 v1, 2, v2
	s_barrier
	buffer_gl0_inv
	ds_store_b32 v0, v30
	ds_store_b32 v1, v31
	s_waitcnt lgkmcnt(0)
	s_barrier
	buffer_gl0_inv
	ds_load_2addr_b32 v[0:1], v25 offset1:32
	s_add_i32 s14, s14, 8
	s_waitcnt lgkmcnt(0)
	s_barrier
	s_cbranch_execz .LBB43_18
.LBB43_6:                               ;   Parent Loop BB43_2 Depth=1
                                        ; =>  This Inner Loop Header: Depth=2
	s_delay_alu instid0(VALU_DEP_2)
	v_mov_b32_e32 v30, v0
	buffer_gl0_inv
	ds_store_2addr_b64 v16, v[11:12], v[13:14] offset0:8 offset1:9
	ds_store_2addr_b64 v18, v[11:12], v[13:14] offset0:2 offset1:3
	s_waitcnt lgkmcnt(0)
	s_barrier
	v_lshrrev_b32_e32 v2, s14, v30
	buffer_gl0_inv
	; wave barrier
	v_lshlrev_b32_e32 v5, 29, v2
	v_bfe_u32 v0, v30, s14, 1
	v_lshlrev_b32_e32 v4, 30, v2
	v_lshlrev_b32_e32 v6, 28, v2
	;; [unrolled: 1-line block ×4, first 2 shown]
	v_add_co_u32 v0, s13, v0, -1
	s_delay_alu instid0(VALU_DEP_1) | instskip(SKIP_3) | instid1(VALU_DEP_4)
	v_cndmask_b32_e64 v3, 0, 1, s13
	v_cmp_gt_i32_e64 s13, 0, v4
	v_lshlrev_b32_e32 v32, 25, v2
	v_lshlrev_b32_e32 v2, 24, v2
	v_cmp_ne_u32_e32 vcc_lo, 0, v3
	v_not_b32_e32 v3, v4
	v_not_b32_e32 v4, v5
	v_xor_b32_e32 v0, vcc_lo, v0
	s_delay_alu instid0(VALU_DEP_3)
	v_ashrrev_i32_e32 v3, 31, v3
	v_cmp_gt_i32_e32 vcc_lo, 0, v5
	v_not_b32_e32 v5, v6
	v_ashrrev_i32_e32 v4, 31, v4
	v_and_b32_e32 v0, exec_lo, v0
	v_xor_b32_e32 v3, s13, v3
	v_cmp_gt_i32_e64 s13, 0, v6
	v_not_b32_e32 v6, v7
	v_ashrrev_i32_e32 v5, 31, v5
	v_xor_b32_e32 v4, vcc_lo, v4
	v_and_b32_e32 v0, v0, v3
	v_cmp_gt_i32_e32 vcc_lo, 0, v7
	v_not_b32_e32 v3, v31
	v_ashrrev_i32_e32 v6, 31, v6
	v_xor_b32_e32 v5, s13, v5
	v_and_b32_e32 v0, v0, v4
	v_cmp_gt_i32_e64 s13, 0, v31
	v_mov_b32_e32 v31, v1
	v_not_b32_e32 v4, v32
	v_ashrrev_i32_e32 v3, 31, v3
	v_xor_b32_e32 v6, vcc_lo, v6
	v_and_b32_e32 v0, v0, v5
	v_cmp_gt_i32_e32 vcc_lo, 0, v32
	v_not_b32_e32 v5, v2
	v_ashrrev_i32_e32 v4, 31, v4
	v_xor_b32_e32 v3, s13, v3
	v_and_b32_e32 v0, v0, v6
	v_cmp_gt_i32_e64 s13, 0, v2
	v_ashrrev_i32_e32 v2, 31, v5
	v_xor_b32_e32 v4, vcc_lo, v4
	v_bfe_u32 v1, v30, s14, 8
	v_and_b32_e32 v0, v0, v3
	s_delay_alu instid0(VALU_DEP_4) | instskip(NEXT) | instid1(VALU_DEP_3)
	v_xor_b32_e32 v2, s13, v2
	v_lshl_add_u32 v1, v1, 4, v19
	s_delay_alu instid0(VALU_DEP_3) | instskip(NEXT) | instid1(VALU_DEP_2)
	v_and_b32_e32 v0, v0, v4
	v_lshl_add_u32 v33, v1, 2, 64
	s_delay_alu instid0(VALU_DEP_2) | instskip(NEXT) | instid1(VALU_DEP_1)
	v_and_b32_e32 v0, v0, v2
	v_mbcnt_lo_u32_b32 v32, v0, 0
	v_cmp_ne_u32_e64 s13, 0, v0
	s_delay_alu instid0(VALU_DEP_2) | instskip(NEXT) | instid1(VALU_DEP_2)
	v_cmp_eq_u32_e32 vcc_lo, 0, v32
	s_and_b32 s17, s13, vcc_lo
	s_delay_alu instid0(SALU_CYCLE_1)
	s_and_saveexec_b32 s13, s17
	s_cbranch_execz .LBB43_8
; %bb.7:                                ;   in Loop: Header=BB43_6 Depth=2
	v_bcnt_u32_b32 v0, v0, 0
	ds_store_b32 v33, v0
.LBB43_8:                               ;   in Loop: Header=BB43_6 Depth=2
	s_or_b32 exec_lo, exec_lo, s13
	v_bfe_u32 v0, v31, s14, 1
	v_lshrrev_b32_e32 v1, s14, v31
	; wave barrier
	s_delay_alu instid0(VALU_DEP_2) | instskip(NEXT) | instid1(VALU_DEP_1)
	v_add_co_u32 v0, s13, v0, -1
	v_cndmask_b32_e64 v2, 0, 1, s13
	s_delay_alu instid0(VALU_DEP_3)
	v_lshlrev_b32_e32 v3, 30, v1
	v_lshlrev_b32_e32 v4, 29, v1
	;; [unrolled: 1-line block ×4, first 2 shown]
	v_cmp_ne_u32_e32 vcc_lo, 0, v2
	v_not_b32_e32 v2, v3
	v_cmp_gt_i32_e64 s13, 0, v3
	v_not_b32_e32 v3, v4
	v_lshlrev_b32_e32 v7, 26, v1
	v_xor_b32_e32 v0, vcc_lo, v0
	v_ashrrev_i32_e32 v2, 31, v2
	v_cmp_gt_i32_e32 vcc_lo, 0, v4
	v_not_b32_e32 v4, v5
	v_ashrrev_i32_e32 v3, 31, v3
	v_and_b32_e32 v0, exec_lo, v0
	v_xor_b32_e32 v2, s13, v2
	v_cmp_gt_i32_e64 s13, 0, v5
	v_not_b32_e32 v5, v6
	v_ashrrev_i32_e32 v4, 31, v4
	v_xor_b32_e32 v3, vcc_lo, v3
	v_and_b32_e32 v0, v0, v2
	v_cmp_gt_i32_e32 vcc_lo, 0, v6
	v_not_b32_e32 v2, v7
	v_ashrrev_i32_e32 v5, 31, v5
	v_xor_b32_e32 v4, s13, v4
	v_and_b32_e32 v0, v0, v3
	v_lshlrev_b32_e32 v3, 25, v1
	v_cmp_gt_i32_e64 s13, 0, v7
	v_ashrrev_i32_e32 v2, 31, v2
	v_xor_b32_e32 v5, vcc_lo, v5
	v_and_b32_e32 v0, v0, v4
	v_not_b32_e32 v6, v3
	v_lshlrev_b32_e32 v1, 24, v1
	v_bfe_u32 v4, v31, s14, 8
	v_xor_b32_e32 v2, s13, v2
	v_and_b32_e32 v0, v0, v5
	v_cmp_gt_i32_e32 vcc_lo, 0, v3
	v_ashrrev_i32_e32 v3, 31, v6
	v_not_b32_e32 v5, v1
	v_lshlrev_b32_e32 v4, 4, v4
	v_and_b32_e32 v0, v0, v2
	s_delay_alu instid0(VALU_DEP_4) | instskip(SKIP_3) | instid1(VALU_DEP_4)
	v_xor_b32_e32 v2, vcc_lo, v3
	v_cmp_gt_i32_e32 vcc_lo, 0, v1
	v_ashrrev_i32_e32 v1, 31, v5
	v_add_lshl_u32 v3, v4, v19, 2
	v_and_b32_e32 v0, v0, v2
	s_delay_alu instid0(VALU_DEP_3) | instskip(SKIP_3) | instid1(VALU_DEP_1)
	v_xor_b32_e32 v1, vcc_lo, v1
	ds_load_b32 v34, v3 offset:64
	v_add_nc_u32_e32 v36, 64, v3
	; wave barrier
	v_and_b32_e32 v0, v0, v1
	v_mbcnt_lo_u32_b32 v35, v0, 0
	v_cmp_ne_u32_e64 s13, 0, v0
	s_delay_alu instid0(VALU_DEP_2) | instskip(NEXT) | instid1(VALU_DEP_2)
	v_cmp_eq_u32_e32 vcc_lo, 0, v35
	s_and_b32 s17, s13, vcc_lo
	s_delay_alu instid0(SALU_CYCLE_1)
	s_and_saveexec_b32 s13, s17
	s_cbranch_execz .LBB43_10
; %bb.9:                                ;   in Loop: Header=BB43_6 Depth=2
	s_waitcnt lgkmcnt(0)
	v_bcnt_u32_b32 v0, v0, v34
	ds_store_b32 v36, v0
.LBB43_10:                              ;   in Loop: Header=BB43_6 Depth=2
	s_or_b32 exec_lo, exec_lo, s13
	; wave barrier
	s_waitcnt lgkmcnt(0)
	s_barrier
	buffer_gl0_inv
	ds_load_2addr_b64 v[4:7], v16 offset0:8 offset1:9
	ds_load_2addr_b64 v[0:3], v18 offset0:2 offset1:3
	s_waitcnt lgkmcnt(1)
	v_add_nc_u32_e32 v37, v5, v4
	s_delay_alu instid0(VALU_DEP_1) | instskip(SKIP_1) | instid1(VALU_DEP_1)
	v_add3_u32 v37, v37, v6, v7
	s_waitcnt lgkmcnt(0)
	v_add3_u32 v37, v37, v0, v1
	s_delay_alu instid0(VALU_DEP_1) | instskip(NEXT) | instid1(VALU_DEP_1)
	v_add3_u32 v3, v37, v2, v3
	v_mov_b32_dpp v37, v3 row_shr:1 row_mask:0xf bank_mask:0xf
	s_delay_alu instid0(VALU_DEP_1) | instskip(NEXT) | instid1(VALU_DEP_1)
	v_cndmask_b32_e64 v37, v37, 0, s2
	v_add_nc_u32_e32 v3, v37, v3
	s_delay_alu instid0(VALU_DEP_1) | instskip(NEXT) | instid1(VALU_DEP_1)
	v_mov_b32_dpp v37, v3 row_shr:2 row_mask:0xf bank_mask:0xf
	v_cndmask_b32_e64 v37, 0, v37, s3
	s_delay_alu instid0(VALU_DEP_1) | instskip(NEXT) | instid1(VALU_DEP_1)
	v_add_nc_u32_e32 v3, v3, v37
	v_mov_b32_dpp v37, v3 row_shr:4 row_mask:0xf bank_mask:0xf
	s_delay_alu instid0(VALU_DEP_1) | instskip(NEXT) | instid1(VALU_DEP_1)
	v_cndmask_b32_e64 v37, 0, v37, s4
	v_add_nc_u32_e32 v3, v3, v37
	s_delay_alu instid0(VALU_DEP_1) | instskip(NEXT) | instid1(VALU_DEP_1)
	v_mov_b32_dpp v37, v3 row_shr:8 row_mask:0xf bank_mask:0xf
	v_cndmask_b32_e64 v37, 0, v37, s5
	s_delay_alu instid0(VALU_DEP_1) | instskip(SKIP_3) | instid1(VALU_DEP_1)
	v_add_nc_u32_e32 v3, v3, v37
	ds_swizzle_b32 v37, v3 offset:swizzle(BROADCAST,32,15)
	s_waitcnt lgkmcnt(0)
	v_cndmask_b32_e64 v37, v37, 0, s6
	v_add_nc_u32_e32 v3, v3, v37
	s_and_saveexec_b32 s13, s7
	s_cbranch_execz .LBB43_12
; %bb.11:                               ;   in Loop: Header=BB43_6 Depth=2
	ds_store_b32 v22, v3
.LBB43_12:                              ;   in Loop: Header=BB43_6 Depth=2
	s_or_b32 exec_lo, exec_lo, s13
	s_waitcnt lgkmcnt(0)
	s_barrier
	buffer_gl0_inv
	s_and_saveexec_b32 s13, s8
	s_cbranch_execz .LBB43_14
; %bb.13:                               ;   in Loop: Header=BB43_6 Depth=2
	ds_load_b32 v37, v23
	s_waitcnt lgkmcnt(0)
	v_mov_b32_dpp v38, v37 row_shr:1 row_mask:0xf bank_mask:0xf
	s_delay_alu instid0(VALU_DEP_1) | instskip(NEXT) | instid1(VALU_DEP_1)
	v_cndmask_b32_e64 v38, v38, 0, s2
	v_add_nc_u32_e32 v37, v38, v37
	s_delay_alu instid0(VALU_DEP_1) | instskip(NEXT) | instid1(VALU_DEP_1)
	v_mov_b32_dpp v38, v37 row_shr:2 row_mask:0xf bank_mask:0xf
	v_cndmask_b32_e64 v38, 0, v38, s3
	s_delay_alu instid0(VALU_DEP_1) | instskip(NEXT) | instid1(VALU_DEP_1)
	v_add_nc_u32_e32 v37, v37, v38
	v_mov_b32_dpp v38, v37 row_shr:4 row_mask:0xf bank_mask:0xf
	s_delay_alu instid0(VALU_DEP_1) | instskip(NEXT) | instid1(VALU_DEP_1)
	v_cndmask_b32_e64 v38, 0, v38, s4
	v_add_nc_u32_e32 v37, v37, v38
	s_delay_alu instid0(VALU_DEP_1) | instskip(NEXT) | instid1(VALU_DEP_1)
	v_mov_b32_dpp v38, v37 row_shr:8 row_mask:0xf bank_mask:0xf
	v_cndmask_b32_e64 v38, 0, v38, s5
	s_delay_alu instid0(VALU_DEP_1)
	v_add_nc_u32_e32 v37, v37, v38
	ds_store_b32 v23, v37
.LBB43_14:                              ;   in Loop: Header=BB43_6 Depth=2
	s_or_b32 exec_lo, exec_lo, s13
	v_mov_b32_e32 v37, 0
	s_waitcnt lgkmcnt(0)
	s_barrier
	buffer_gl0_inv
	s_and_saveexec_b32 s13, s9
	s_cbranch_execz .LBB43_16
; %bb.15:                               ;   in Loop: Header=BB43_6 Depth=2
	ds_load_b32 v37, v24
.LBB43_16:                              ;   in Loop: Header=BB43_6 Depth=2
	s_or_b32 exec_lo, exec_lo, s13
	s_waitcnt lgkmcnt(0)
	v_add_nc_u32_e32 v3, v37, v3
	s_cmp_gt_u32 s14, 23
	ds_bpermute_b32 v3, v21, v3
	s_waitcnt lgkmcnt(0)
	v_cndmask_b32_e64 v3, v3, v37, s10
	s_delay_alu instid0(VALU_DEP_1) | instskip(NEXT) | instid1(VALU_DEP_1)
	v_cndmask_b32_e64 v3, v3, 0, s11
	v_add_nc_u32_e32 v4, v3, v4
	s_delay_alu instid0(VALU_DEP_1) | instskip(NEXT) | instid1(VALU_DEP_1)
	v_add_nc_u32_e32 v5, v4, v5
	v_add_nc_u32_e32 v6, v5, v6
	s_delay_alu instid0(VALU_DEP_1) | instskip(NEXT) | instid1(VALU_DEP_1)
	v_add_nc_u32_e32 v37, v6, v7
	;; [unrolled: 3-line block ×3, first 2 shown]
	v_add_nc_u32_e32 v1, v0, v2
	ds_store_2addr_b64 v16, v[3:4], v[5:6] offset0:8 offset1:9
	ds_store_2addr_b64 v18, v[37:38], v[0:1] offset0:2 offset1:3
	s_waitcnt lgkmcnt(0)
	s_barrier
	buffer_gl0_inv
	ds_load_b32 v0, v33
	ds_load_b32 v1, v36
	s_waitcnt lgkmcnt(1)
	v_add_nc_u32_e32 v3, v0, v32
	s_waitcnt lgkmcnt(0)
	v_add3_u32 v2, v35, v34, v1
	s_cbranch_scc0 .LBB43_5
; %bb.17:                               ;   in Loop: Header=BB43_2 Depth=1
                                        ; implicit-def: $vgpr1
                                        ; implicit-def: $sgpr14
.LBB43_18:                              ;   in Loop: Header=BB43_2 Depth=1
	s_delay_alu instid0(VALU_DEP_2) | instskip(NEXT) | instid1(VALU_DEP_2)
	v_lshlrev_b32_e32 v0, 2, v3
	v_lshlrev_b32_e32 v1, 2, v2
	s_barrier
	buffer_gl0_inv
	ds_store_b32 v0, v30
	ds_store_b32 v1, v31
	s_waitcnt lgkmcnt(0)
	s_barrier
	buffer_gl0_inv
	ds_load_b64 v[3:4], v26
	s_waitcnt lgkmcnt(0)
	s_barrier
	buffer_gl0_inv
	s_and_saveexec_b32 s13, s0
	s_cbranch_execz .LBB43_20
; %bb.19:                               ;   in Loop: Header=BB43_2 Depth=1
	ds_store_2addr_stride64_b32 v23, v29, v29 offset0:16 offset1:24
.LBB43_20:                              ;   in Loop: Header=BB43_2 Depth=1
	s_or_b32 exec_lo, exec_lo, s13
	v_xor_b32_e32 v1, 0x80000000, v3
	v_xor_b32_e32 v2, 0x80000000, v4
	s_mov_b32 s13, exec_lo
	s_waitcnt lgkmcnt(0)
	s_barrier
	v_lshlrev_b32_e32 v0, 2, v1
	buffer_gl0_inv
	ds_store_b32 v23, v2
	v_cmpx_ne_u32_e64 v3, v4
	s_cbranch_execz .LBB43_22
; %bb.21:                               ;   in Loop: Header=BB43_2 Depth=1
	v_lshlrev_b32_e32 v3, 2, v2
	ds_store_b32 v3, v27 offset:4096
	ds_store_b32 v0, v27 offset:6144
.LBB43_22:                              ;   in Loop: Header=BB43_2 Depth=1
	s_or_b32 exec_lo, exec_lo, s13
	s_waitcnt lgkmcnt(0)
	s_barrier
	buffer_gl0_inv
	s_and_saveexec_b32 s13, s12
	s_cbranch_execz .LBB43_25
; %bb.23:                               ;   in Loop: Header=BB43_2 Depth=1
	ds_load_b32 v3, v28
	s_waitcnt lgkmcnt(0)
	v_cmp_ne_u32_e32 vcc_lo, v3, v1
	s_and_b32 exec_lo, exec_lo, vcc_lo
	s_cbranch_execz .LBB43_25
; %bb.24:                               ;   in Loop: Header=BB43_2 Depth=1
	ds_store_b32 v0, v15 offset:4096
	ds_load_b32 v3, v28
	s_waitcnt lgkmcnt(0)
	v_lshlrev_b32_e32 v3, 2, v3
	ds_store_b32 v3, v15 offset:6144
.LBB43_25:                              ;   in Loop: Header=BB43_2 Depth=1
	s_or_b32 exec_lo, exec_lo, s13
	s_waitcnt lgkmcnt(0)
	s_barrier
	buffer_gl0_inv
	s_and_saveexec_b32 s13, s11
	s_cbranch_execz .LBB43_27
; %bb.26:                               ;   in Loop: Header=BB43_2 Depth=1
	ds_store_b32 v0, v10 offset:4096
.LBB43_27:                              ;   in Loop: Header=BB43_2 Depth=1
	s_or_b32 exec_lo, exec_lo, s13
	s_waitcnt lgkmcnt(0)
	s_barrier
	buffer_gl0_inv
	s_and_saveexec_b32 s13, s0
	s_cbranch_execz .LBB43_1
; %bb.28:                               ;   in Loop: Header=BB43_2 Depth=1
	ds_load_2addr_stride64_b32 v[3:4], v23 offset0:16 offset1:24
	ds_load_b32 v0, v20
	s_waitcnt lgkmcnt(1)
	v_sub_nc_u32_e32 v3, v4, v3
	s_waitcnt lgkmcnt(0)
	s_delay_alu instid0(VALU_DEP_1)
	v_add_nc_u32_e32 v0, v3, v0
	ds_store_b32 v20, v0
	s_branch .LBB43_1
.LBB43_29:
	s_and_saveexec_b32 s1, s0
	s_cbranch_execz .LBB43_31
; %bb.30:
	ds_load_b32 v2, v20
	v_lshl_or_b32 v0, s15, 9, v8
	v_mov_b32_e32 v1, 0
	s_delay_alu instid0(VALU_DEP_1) | instskip(NEXT) | instid1(VALU_DEP_1)
	v_lshlrev_b64 v[0:1], 2, v[0:1]
	v_add_co_u32 v0, vcc_lo, s18, v0
	s_delay_alu instid0(VALU_DEP_2)
	v_add_co_ci_u32_e32 v1, vcc_lo, s19, v1, vcc_lo
	s_waitcnt lgkmcnt(0)
	global_store_b32 v[0:1], v2, off
.LBB43_31:
	s_nop 0
	s_sendmsg sendmsg(MSG_DEALLOC_VGPRS)
	s_endpgm
	.section	.rodata,"a",@progbits
	.p2align	6, 0x0
	.amdhsa_kernel _Z6kernelI9histogramILN6hipcub23BlockHistogramAlgorithmE1EEiLj512ELj2ELj512ELj100EEvPKT0_PS4_
		.amdhsa_group_segment_fixed_size 18496
		.amdhsa_private_segment_fixed_size 0
		.amdhsa_kernarg_size 272
		.amdhsa_user_sgpr_count 15
		.amdhsa_user_sgpr_dispatch_ptr 0
		.amdhsa_user_sgpr_queue_ptr 0
		.amdhsa_user_sgpr_kernarg_segment_ptr 1
		.amdhsa_user_sgpr_dispatch_id 0
		.amdhsa_user_sgpr_private_segment_size 0
		.amdhsa_wavefront_size32 1
		.amdhsa_uses_dynamic_stack 0
		.amdhsa_enable_private_segment 0
		.amdhsa_system_sgpr_workgroup_id_x 1
		.amdhsa_system_sgpr_workgroup_id_y 0
		.amdhsa_system_sgpr_workgroup_id_z 0
		.amdhsa_system_sgpr_workgroup_info 0
		.amdhsa_system_vgpr_workitem_id 2
		.amdhsa_next_free_vgpr 39
		.amdhsa_next_free_sgpr 22
		.amdhsa_reserve_vcc 1
		.amdhsa_float_round_mode_32 0
		.amdhsa_float_round_mode_16_64 0
		.amdhsa_float_denorm_mode_32 3
		.amdhsa_float_denorm_mode_16_64 3
		.amdhsa_dx10_clamp 1
		.amdhsa_ieee_mode 1
		.amdhsa_fp16_overflow 0
		.amdhsa_workgroup_processor_mode 1
		.amdhsa_memory_ordered 1
		.amdhsa_forward_progress 0
		.amdhsa_shared_vgpr_count 0
		.amdhsa_exception_fp_ieee_invalid_op 0
		.amdhsa_exception_fp_denorm_src 0
		.amdhsa_exception_fp_ieee_div_zero 0
		.amdhsa_exception_fp_ieee_overflow 0
		.amdhsa_exception_fp_ieee_underflow 0
		.amdhsa_exception_fp_ieee_inexact 0
		.amdhsa_exception_int_div_zero 0
	.end_amdhsa_kernel
	.section	.text._Z6kernelI9histogramILN6hipcub23BlockHistogramAlgorithmE1EEiLj512ELj2ELj512ELj100EEvPKT0_PS4_,"axG",@progbits,_Z6kernelI9histogramILN6hipcub23BlockHistogramAlgorithmE1EEiLj512ELj2ELj512ELj100EEvPKT0_PS4_,comdat
.Lfunc_end43:
	.size	_Z6kernelI9histogramILN6hipcub23BlockHistogramAlgorithmE1EEiLj512ELj2ELj512ELj100EEvPKT0_PS4_, .Lfunc_end43-_Z6kernelI9histogramILN6hipcub23BlockHistogramAlgorithmE1EEiLj512ELj2ELj512ELj100EEvPKT0_PS4_
                                        ; -- End function
	.section	.AMDGPU.csdata,"",@progbits
; Kernel info:
; codeLenInByte = 2384
; NumSgprs: 24
; NumVgprs: 39
; ScratchSize: 0
; MemoryBound: 0
; FloatMode: 240
; IeeeMode: 1
; LDSByteSize: 18496 bytes/workgroup (compile time only)
; SGPRBlocks: 2
; VGPRBlocks: 4
; NumSGPRsForWavesPerEU: 24
; NumVGPRsForWavesPerEU: 39
; Occupancy: 16
; WaveLimiterHint : 0
; COMPUTE_PGM_RSRC2:SCRATCH_EN: 0
; COMPUTE_PGM_RSRC2:USER_SGPR: 15
; COMPUTE_PGM_RSRC2:TRAP_HANDLER: 0
; COMPUTE_PGM_RSRC2:TGID_X_EN: 1
; COMPUTE_PGM_RSRC2:TGID_Y_EN: 0
; COMPUTE_PGM_RSRC2:TGID_Z_EN: 0
; COMPUTE_PGM_RSRC2:TIDIG_COMP_CNT: 2
	.section	.text._Z6kernelI9histogramILN6hipcub23BlockHistogramAlgorithmE1EEiLj512ELj3ELj512ELj100EEvPKT0_PS4_,"axG",@progbits,_Z6kernelI9histogramILN6hipcub23BlockHistogramAlgorithmE1EEiLj512ELj3ELj512ELj100EEvPKT0_PS4_,comdat
	.protected	_Z6kernelI9histogramILN6hipcub23BlockHistogramAlgorithmE1EEiLj512ELj3ELj512ELj100EEvPKT0_PS4_ ; -- Begin function _Z6kernelI9histogramILN6hipcub23BlockHistogramAlgorithmE1EEiLj512ELj3ELj512ELj100EEvPKT0_PS4_
	.globl	_Z6kernelI9histogramILN6hipcub23BlockHistogramAlgorithmE1EEiLj512ELj3ELj512ELj100EEvPKT0_PS4_
	.p2align	8
	.type	_Z6kernelI9histogramILN6hipcub23BlockHistogramAlgorithmE1EEiLj512ELj3ELj512ELj100EEvPKT0_PS4_,@function
_Z6kernelI9histogramILN6hipcub23BlockHistogramAlgorithmE1EEiLj512ELj3ELj512ELj100EEvPKT0_PS4_: ; @_Z6kernelI9histogramILN6hipcub23BlockHistogramAlgorithmE1EEiLj512ELj3ELj512ELj100EEvPKT0_PS4_
; %bb.0:
	v_and_b32_e32 v4, 0x3ff, v0
	s_lshl_b32 s2, s15, 9
	s_clause 0x1
	s_load_b128 s[12:15], s[0:1], 0x0
	s_load_b32 s0, s[0:1], 0x1c
	s_mov_b32 s16, 0
	v_or_b32_e32 v8, s2, v4
	v_lshrrev_b32_e32 v7, 5, v4
	s_mov_b32 s17, s16
	v_mov_b32_e32 v30, 0x600
	s_delay_alu instid0(VALU_DEP_3) | instskip(NEXT) | instid1(VALU_DEP_3)
	v_lshl_add_u32 v9, v8, 1, v8
	v_dual_mov_b32 v10, 0 :: v_dual_lshlrev_b32 v21, 2, v7
	s_delay_alu instid0(VALU_DEP_1) | instskip(SKIP_2) | instid1(VALU_DEP_4)
	v_dual_mov_b32 v2, v10 :: v_dual_add_nc_u32 v1, 1, v9
	v_lshlrev_b64 v[5:6], 2, v[9:10]
	v_add_nc_u32_e32 v9, 2, v9
	v_add_nc_u32_e32 v23, -4, v21
	s_delay_alu instid0(VALU_DEP_4) | instskip(NEXT) | instid1(VALU_DEP_3)
	v_lshlrev_b64 v[1:2], 2, v[1:2]
	v_lshlrev_b64 v[11:12], 2, v[9:10]
	s_waitcnt lgkmcnt(0)
	v_add_co_u32 v5, vcc_lo, s12, v5
	v_add_co_ci_u32_e32 v6, vcc_lo, s13, v6, vcc_lo
	s_delay_alu instid0(VALU_DEP_4)
	v_add_co_u32 v13, vcc_lo, s12, v1
	v_add_co_ci_u32_e32 v14, vcc_lo, s13, v2, vcc_lo
	v_add_co_u32 v11, vcc_lo, s12, v11
	v_add_co_ci_u32_e32 v12, vcc_lo, s13, v12, vcc_lo
	s_clause 0x2
	global_load_b32 v1, v[5:6], off
	global_load_b32 v2, v[13:14], off
	;; [unrolled: 1-line block ×3, first 2 shown]
	v_bfe_u32 v5, v0, 10, 10
	v_bfe_u32 v0, v0, 20, 10
	v_mul_u32_u24_e32 v9, 0x60, v7
	s_lshr_b32 s1, s0, 16
	v_mbcnt_lo_u32_b32 v11, -1, 0
	s_and_b32 s0, s0, 0xffff
	v_mad_u32_u24 v0, v0, s1, v5
	s_mov_b32 s12, s16
	s_mov_b32 s13, s16
	v_lshlrev_b32_e32 v12, 2, v9
	v_cmp_eq_u32_e64 s9, 0, v11
	v_mad_u64_u32 v[5:6], null, v0, s0, v[4:5]
	v_or_b32_e32 v0, v11, v9
	s_delay_alu instid0(VALU_DEP_4) | instskip(SKIP_2) | instid1(VALU_DEP_4)
	v_mad_u32_u24 v15, v11, 12, v12
	v_add_nc_u32_e32 v12, -1, v11
	v_and_b32_e32 v6, 15, v11
	v_lshlrev_b32_e32 v16, 2, v0
	v_lshrrev_b32_e32 v18, 5, v5
	v_and_b32_e32 v5, 16, v11
	v_cmp_gt_i32_e32 vcc_lo, 0, v12
	s_delay_alu instid0(VALU_DEP_2)
	v_cmp_eq_u32_e64 s5, 0, v5
	v_dual_cndmask_b32 v5, v12, v11 :: v_dual_and_b32 v0, 0x1e0, v4
	v_lshlrev_b32_e32 v9, 5, v4
	v_cmp_gt_u32_e64 s0, 0x200, v4
	v_cmp_gt_u32_e64 s7, 16, v4
	v_cmp_lt_u32_e64 s8, 31, v4
	v_or_b32_e32 v13, 31, v0
	v_mul_u32_u24_e32 v0, 3, v0
	v_lshlrev_b32_e32 v20, 2, v5
	v_cmp_eq_u32_e64 s10, 0, v4
	v_cmp_ne_u32_e64 s11, 0, v4
	v_cmp_eq_u32_e64 s6, v13, v4
	v_or_b32_e32 v0, v11, v0
	v_dual_mov_b32 v11, s16 :: v_dual_mov_b32 v12, s17
	v_mad_i32_i24 v22, 0xffffffe4, v4, v9
	v_dual_mov_b32 v14, s13 :: v_dual_add_nc_u32 v17, 64, v9
	v_cmp_eq_u32_e64 s1, 0, v6
	v_cmp_lt_u32_e64 s2, 1, v6
	v_cmp_lt_u32_e64 s3, 3, v6
	;; [unrolled: 1-line block ×3, first 2 shown]
	v_lshlrev_b32_e32 v24, 2, v0
	v_mul_u32_u24_e32 v25, 3, v4
	v_lshl_add_u32 v26, v4, 3, v22
	v_mad_u32_u24 v27, v4, 3, 1
	v_mad_u32_u24 v28, v4, 3, 2
	v_lshl_add_u32 v19, v4, 2, 0x4040
	v_add_nc_u32_e32 v29, -4, v22
	v_mov_b32_e32 v13, s12
	s_branch .LBB44_2
.LBB44_1:                               ;   in Loop: Header=BB44_2 Depth=1
	s_or_b32 exec_lo, exec_lo, s12
	s_add_i32 s16, s16, 1
	s_delay_alu instid0(SALU_CYCLE_1)
	s_cmpk_eq_i32 s16, 0x64
	s_cbranch_scc1 .LBB44_33
.LBB44_2:                               ; =>This Loop Header: Depth=1
                                        ;     Child Loop BB44_6 Depth 2
	s_and_saveexec_b32 s12, s0
	s_cbranch_execz .LBB44_4
; %bb.3:                                ;   in Loop: Header=BB44_2 Depth=1
	ds_store_b32 v19, v10
.LBB44_4:                               ;   in Loop: Header=BB44_2 Depth=1
	s_or_b32 exec_lo, exec_lo, s12
	s_waitcnt vmcnt(2)
	v_xor_b32_e32 v0, 0x80000000, v1
	s_waitcnt vmcnt(1)
	v_xor_b32_e32 v1, 0x80000000, v2
	;; [unrolled: 2-line block ×3, first 2 shown]
	s_waitcnt lgkmcnt(0)
	s_barrier
	buffer_gl0_inv
	ds_store_2addr_b32 v15, v0, v1 offset1:1
	ds_store_b32 v15, v2 offset:8
	; wave barrier
	ds_load_2addr_b32 v[0:1], v16 offset1:32
	ds_load_b32 v2, v16 offset:256
	s_mov_b32 s13, 0
	s_waitcnt lgkmcnt(0)
	s_barrier
	buffer_gl0_inv
	; wave barrier
	s_barrier
	s_branch .LBB44_6
.LBB44_5:                               ;   in Loop: Header=BB44_6 Depth=2
	v_lshlrev_b32_e32 v0, 2, v5
	v_lshlrev_b32_e32 v1, 2, v4
	s_delay_alu instid0(VALU_DEP_3)
	v_lshlrev_b32_e32 v2, 2, v3
	s_barrier
	buffer_gl0_inv
	ds_store_b32 v0, v31
	ds_store_b32 v1, v33
	;; [unrolled: 1-line block ×3, first 2 shown]
	s_waitcnt lgkmcnt(0)
	s_barrier
	buffer_gl0_inv
	ds_load_2addr_b32 v[0:1], v24 offset1:32
	ds_load_b32 v2, v24 offset:256
	s_add_i32 s13, s13, 8
	s_waitcnt lgkmcnt(0)
	s_barrier
	s_cbranch_execz .LBB44_20
.LBB44_6:                               ;   Parent Loop BB44_2 Depth=1
                                        ; =>  This Inner Loop Header: Depth=2
	v_mov_b32_e32 v31, v0
	buffer_gl0_inv
	ds_store_2addr_b64 v9, v[11:12], v[13:14] offset0:8 offset1:9
	ds_store_2addr_b64 v17, v[11:12], v[13:14] offset0:2 offset1:3
	s_waitcnt lgkmcnt(0)
	s_barrier
	v_lshrrev_b32_e32 v3, s13, v31
	buffer_gl0_inv
	; wave barrier
	v_lshlrev_b32_e32 v6, 29, v3
	v_bfe_u32 v0, v31, s13, 1
	v_lshlrev_b32_e32 v5, 30, v3
	v_lshlrev_b32_e32 v7, 28, v3
	;; [unrolled: 1-line block ×4, first 2 shown]
	v_add_co_u32 v0, s12, v0, -1
	s_delay_alu instid0(VALU_DEP_1) | instskip(SKIP_3) | instid1(VALU_DEP_4)
	v_cndmask_b32_e64 v4, 0, 1, s12
	v_cmp_gt_i32_e64 s12, 0, v5
	v_lshlrev_b32_e32 v34, 25, v3
	v_lshlrev_b32_e32 v3, 24, v3
	v_cmp_ne_u32_e32 vcc_lo, 0, v4
	v_not_b32_e32 v4, v5
	v_not_b32_e32 v5, v6
	v_xor_b32_e32 v0, vcc_lo, v0
	s_delay_alu instid0(VALU_DEP_3)
	v_ashrrev_i32_e32 v4, 31, v4
	v_cmp_gt_i32_e32 vcc_lo, 0, v6
	v_not_b32_e32 v6, v7
	v_ashrrev_i32_e32 v5, 31, v5
	v_and_b32_e32 v0, exec_lo, v0
	v_xor_b32_e32 v4, s12, v4
	v_cmp_gt_i32_e64 s12, 0, v7
	v_ashrrev_i32_e32 v6, 31, v6
	v_xor_b32_e32 v5, vcc_lo, v5
	s_delay_alu instid0(VALU_DEP_4) | instskip(SKIP_1) | instid1(VALU_DEP_4)
	v_and_b32_e32 v0, v0, v4
	v_not_b32_e32 v4, v33
	v_xor_b32_e32 v6, s12, v6
	v_cmp_gt_i32_e64 s12, 0, v33
	v_mov_b32_e32 v33, v1
	v_not_b32_e32 v7, v32
	v_cmp_gt_i32_e32 vcc_lo, 0, v32
	v_and_b32_e32 v0, v0, v5
	v_not_b32_e32 v5, v34
	v_ashrrev_i32_e32 v4, 31, v4
	v_ashrrev_i32_e32 v7, 31, v7
	v_bfe_u32 v1, v31, s13, 8
	v_and_b32_e32 v0, v0, v6
	v_not_b32_e32 v6, v3
	v_ashrrev_i32_e32 v5, 31, v5
	v_xor_b32_e32 v7, vcc_lo, v7
	v_cmp_gt_i32_e32 vcc_lo, 0, v34
	v_xor_b32_e32 v4, s12, v4
	v_cmp_gt_i32_e64 s12, 0, v3
	v_ashrrev_i32_e32 v3, 31, v6
	v_and_b32_e32 v0, v0, v7
	v_xor_b32_e32 v5, vcc_lo, v5
	v_lshl_add_u32 v1, v1, 4, v18
	v_mov_b32_e32 v32, v2
	v_xor_b32_e32 v3, s12, v3
	v_and_b32_e32 v0, v0, v4
	s_delay_alu instid0(VALU_DEP_4) | instskip(NEXT) | instid1(VALU_DEP_2)
	v_lshl_add_u32 v35, v1, 2, 64
	v_and_b32_e32 v0, v0, v5
	s_delay_alu instid0(VALU_DEP_1) | instskip(NEXT) | instid1(VALU_DEP_1)
	v_and_b32_e32 v0, v0, v3
	v_mbcnt_lo_u32_b32 v34, v0, 0
	v_cmp_ne_u32_e64 s12, 0, v0
	s_delay_alu instid0(VALU_DEP_2) | instskip(NEXT) | instid1(VALU_DEP_2)
	v_cmp_eq_u32_e32 vcc_lo, 0, v34
	s_and_b32 s17, s12, vcc_lo
	s_delay_alu instid0(SALU_CYCLE_1)
	s_and_saveexec_b32 s12, s17
	s_cbranch_execz .LBB44_8
; %bb.7:                                ;   in Loop: Header=BB44_6 Depth=2
	v_bcnt_u32_b32 v0, v0, 0
	ds_store_b32 v35, v0
.LBB44_8:                               ;   in Loop: Header=BB44_6 Depth=2
	s_or_b32 exec_lo, exec_lo, s12
	v_bfe_u32 v0, v33, s13, 1
	v_lshrrev_b32_e32 v1, s13, v33
	; wave barrier
	s_delay_alu instid0(VALU_DEP_2) | instskip(NEXT) | instid1(VALU_DEP_1)
	v_add_co_u32 v0, s12, v0, -1
	v_cndmask_b32_e64 v2, 0, 1, s12
	s_delay_alu instid0(VALU_DEP_3)
	v_lshlrev_b32_e32 v3, 30, v1
	v_lshlrev_b32_e32 v4, 29, v1
	;; [unrolled: 1-line block ×4, first 2 shown]
	v_cmp_ne_u32_e32 vcc_lo, 0, v2
	v_not_b32_e32 v2, v3
	v_cmp_gt_i32_e64 s12, 0, v3
	v_not_b32_e32 v3, v4
	v_lshlrev_b32_e32 v7, 26, v1
	v_xor_b32_e32 v0, vcc_lo, v0
	v_ashrrev_i32_e32 v2, 31, v2
	v_cmp_gt_i32_e32 vcc_lo, 0, v4
	v_not_b32_e32 v4, v5
	v_ashrrev_i32_e32 v3, 31, v3
	v_and_b32_e32 v0, exec_lo, v0
	v_xor_b32_e32 v2, s12, v2
	v_cmp_gt_i32_e64 s12, 0, v5
	v_not_b32_e32 v5, v6
	v_ashrrev_i32_e32 v4, 31, v4
	v_xor_b32_e32 v3, vcc_lo, v3
	v_and_b32_e32 v0, v0, v2
	v_cmp_gt_i32_e32 vcc_lo, 0, v6
	v_not_b32_e32 v2, v7
	v_ashrrev_i32_e32 v5, 31, v5
	v_xor_b32_e32 v4, s12, v4
	v_and_b32_e32 v0, v0, v3
	v_lshlrev_b32_e32 v3, 25, v1
	v_cmp_gt_i32_e64 s12, 0, v7
	v_ashrrev_i32_e32 v2, 31, v2
	v_xor_b32_e32 v5, vcc_lo, v5
	v_and_b32_e32 v0, v0, v4
	v_not_b32_e32 v6, v3
	v_lshlrev_b32_e32 v1, 24, v1
	v_bfe_u32 v4, v33, s13, 8
	v_xor_b32_e32 v2, s12, v2
	v_and_b32_e32 v0, v0, v5
	v_cmp_gt_i32_e32 vcc_lo, 0, v3
	v_ashrrev_i32_e32 v3, 31, v6
	v_not_b32_e32 v5, v1
	v_lshlrev_b32_e32 v4, 4, v4
	v_and_b32_e32 v0, v0, v2
	s_delay_alu instid0(VALU_DEP_4) | instskip(SKIP_3) | instid1(VALU_DEP_4)
	v_xor_b32_e32 v2, vcc_lo, v3
	v_cmp_gt_i32_e32 vcc_lo, 0, v1
	v_ashrrev_i32_e32 v1, 31, v5
	v_add_lshl_u32 v3, v4, v18, 2
	v_and_b32_e32 v0, v0, v2
	s_delay_alu instid0(VALU_DEP_3) | instskip(SKIP_3) | instid1(VALU_DEP_1)
	v_xor_b32_e32 v1, vcc_lo, v1
	ds_load_b32 v36, v3 offset:64
	v_add_nc_u32_e32 v38, 64, v3
	; wave barrier
	v_and_b32_e32 v0, v0, v1
	v_mbcnt_lo_u32_b32 v37, v0, 0
	v_cmp_ne_u32_e64 s12, 0, v0
	s_delay_alu instid0(VALU_DEP_2) | instskip(NEXT) | instid1(VALU_DEP_2)
	v_cmp_eq_u32_e32 vcc_lo, 0, v37
	s_and_b32 s17, s12, vcc_lo
	s_delay_alu instid0(SALU_CYCLE_1)
	s_and_saveexec_b32 s12, s17
	s_cbranch_execz .LBB44_10
; %bb.9:                                ;   in Loop: Header=BB44_6 Depth=2
	s_waitcnt lgkmcnt(0)
	v_bcnt_u32_b32 v0, v0, v36
	ds_store_b32 v38, v0
.LBB44_10:                              ;   in Loop: Header=BB44_6 Depth=2
	s_or_b32 exec_lo, exec_lo, s12
	v_bfe_u32 v0, v32, s13, 1
	v_lshrrev_b32_e32 v1, s13, v32
	; wave barrier
	s_delay_alu instid0(VALU_DEP_2) | instskip(NEXT) | instid1(VALU_DEP_1)
	v_add_co_u32 v0, s12, v0, -1
	v_cndmask_b32_e64 v2, 0, 1, s12
	s_delay_alu instid0(VALU_DEP_3)
	v_lshlrev_b32_e32 v3, 30, v1
	v_lshlrev_b32_e32 v4, 29, v1
	;; [unrolled: 1-line block ×4, first 2 shown]
	v_cmp_ne_u32_e32 vcc_lo, 0, v2
	v_not_b32_e32 v2, v3
	v_cmp_gt_i32_e64 s12, 0, v3
	v_not_b32_e32 v3, v4
	v_lshlrev_b32_e32 v7, 26, v1
	v_xor_b32_e32 v0, vcc_lo, v0
	v_ashrrev_i32_e32 v2, 31, v2
	v_cmp_gt_i32_e32 vcc_lo, 0, v4
	v_not_b32_e32 v4, v5
	v_ashrrev_i32_e32 v3, 31, v3
	v_and_b32_e32 v0, exec_lo, v0
	v_xor_b32_e32 v2, s12, v2
	v_cmp_gt_i32_e64 s12, 0, v5
	v_not_b32_e32 v5, v6
	v_ashrrev_i32_e32 v4, 31, v4
	v_xor_b32_e32 v3, vcc_lo, v3
	v_and_b32_e32 v0, v0, v2
	v_cmp_gt_i32_e32 vcc_lo, 0, v6
	v_not_b32_e32 v2, v7
	v_ashrrev_i32_e32 v5, 31, v5
	v_xor_b32_e32 v4, s12, v4
	v_and_b32_e32 v0, v0, v3
	v_lshlrev_b32_e32 v3, 25, v1
	v_cmp_gt_i32_e64 s12, 0, v7
	v_ashrrev_i32_e32 v2, 31, v2
	v_xor_b32_e32 v5, vcc_lo, v5
	v_and_b32_e32 v0, v0, v4
	v_not_b32_e32 v6, v3
	v_lshlrev_b32_e32 v1, 24, v1
	v_bfe_u32 v4, v32, s13, 8
	v_xor_b32_e32 v2, s12, v2
	v_and_b32_e32 v0, v0, v5
	v_cmp_gt_i32_e32 vcc_lo, 0, v3
	v_ashrrev_i32_e32 v3, 31, v6
	v_not_b32_e32 v5, v1
	v_lshlrev_b32_e32 v4, 4, v4
	v_and_b32_e32 v0, v0, v2
	s_delay_alu instid0(VALU_DEP_4) | instskip(SKIP_3) | instid1(VALU_DEP_4)
	v_xor_b32_e32 v2, vcc_lo, v3
	v_cmp_gt_i32_e32 vcc_lo, 0, v1
	v_ashrrev_i32_e32 v1, 31, v5
	v_add_lshl_u32 v3, v4, v18, 2
	v_and_b32_e32 v0, v0, v2
	s_delay_alu instid0(VALU_DEP_3) | instskip(SKIP_3) | instid1(VALU_DEP_1)
	v_xor_b32_e32 v1, vcc_lo, v1
	ds_load_b32 v39, v3 offset:64
	v_add_nc_u32_e32 v41, 64, v3
	; wave barrier
	v_and_b32_e32 v0, v0, v1
	v_mbcnt_lo_u32_b32 v40, v0, 0
	v_cmp_ne_u32_e64 s12, 0, v0
	s_delay_alu instid0(VALU_DEP_2) | instskip(NEXT) | instid1(VALU_DEP_2)
	v_cmp_eq_u32_e32 vcc_lo, 0, v40
	s_and_b32 s17, s12, vcc_lo
	s_delay_alu instid0(SALU_CYCLE_1)
	s_and_saveexec_b32 s12, s17
	s_cbranch_execz .LBB44_12
; %bb.11:                               ;   in Loop: Header=BB44_6 Depth=2
	s_waitcnt lgkmcnt(0)
	v_bcnt_u32_b32 v0, v0, v39
	ds_store_b32 v41, v0
.LBB44_12:                              ;   in Loop: Header=BB44_6 Depth=2
	s_or_b32 exec_lo, exec_lo, s12
	; wave barrier
	s_waitcnt lgkmcnt(0)
	s_barrier
	buffer_gl0_inv
	ds_load_2addr_b64 v[4:7], v9 offset0:8 offset1:9
	ds_load_2addr_b64 v[0:3], v17 offset0:2 offset1:3
	s_waitcnt lgkmcnt(1)
	v_add_nc_u32_e32 v42, v5, v4
	s_delay_alu instid0(VALU_DEP_1) | instskip(SKIP_1) | instid1(VALU_DEP_1)
	v_add3_u32 v42, v42, v6, v7
	s_waitcnt lgkmcnt(0)
	v_add3_u32 v42, v42, v0, v1
	s_delay_alu instid0(VALU_DEP_1) | instskip(NEXT) | instid1(VALU_DEP_1)
	v_add3_u32 v3, v42, v2, v3
	v_mov_b32_dpp v42, v3 row_shr:1 row_mask:0xf bank_mask:0xf
	s_delay_alu instid0(VALU_DEP_1) | instskip(NEXT) | instid1(VALU_DEP_1)
	v_cndmask_b32_e64 v42, v42, 0, s1
	v_add_nc_u32_e32 v3, v42, v3
	s_delay_alu instid0(VALU_DEP_1) | instskip(NEXT) | instid1(VALU_DEP_1)
	v_mov_b32_dpp v42, v3 row_shr:2 row_mask:0xf bank_mask:0xf
	v_cndmask_b32_e64 v42, 0, v42, s2
	s_delay_alu instid0(VALU_DEP_1) | instskip(NEXT) | instid1(VALU_DEP_1)
	v_add_nc_u32_e32 v3, v3, v42
	v_mov_b32_dpp v42, v3 row_shr:4 row_mask:0xf bank_mask:0xf
	s_delay_alu instid0(VALU_DEP_1) | instskip(NEXT) | instid1(VALU_DEP_1)
	v_cndmask_b32_e64 v42, 0, v42, s3
	v_add_nc_u32_e32 v3, v3, v42
	s_delay_alu instid0(VALU_DEP_1) | instskip(NEXT) | instid1(VALU_DEP_1)
	v_mov_b32_dpp v42, v3 row_shr:8 row_mask:0xf bank_mask:0xf
	v_cndmask_b32_e64 v42, 0, v42, s4
	s_delay_alu instid0(VALU_DEP_1) | instskip(SKIP_3) | instid1(VALU_DEP_1)
	v_add_nc_u32_e32 v3, v3, v42
	ds_swizzle_b32 v42, v3 offset:swizzle(BROADCAST,32,15)
	s_waitcnt lgkmcnt(0)
	v_cndmask_b32_e64 v42, v42, 0, s5
	v_add_nc_u32_e32 v3, v3, v42
	s_and_saveexec_b32 s12, s6
	s_cbranch_execz .LBB44_14
; %bb.13:                               ;   in Loop: Header=BB44_6 Depth=2
	ds_store_b32 v21, v3
.LBB44_14:                              ;   in Loop: Header=BB44_6 Depth=2
	s_or_b32 exec_lo, exec_lo, s12
	s_waitcnt lgkmcnt(0)
	s_barrier
	buffer_gl0_inv
	s_and_saveexec_b32 s12, s7
	s_cbranch_execz .LBB44_16
; %bb.15:                               ;   in Loop: Header=BB44_6 Depth=2
	ds_load_b32 v42, v22
	s_waitcnt lgkmcnt(0)
	v_mov_b32_dpp v43, v42 row_shr:1 row_mask:0xf bank_mask:0xf
	s_delay_alu instid0(VALU_DEP_1) | instskip(NEXT) | instid1(VALU_DEP_1)
	v_cndmask_b32_e64 v43, v43, 0, s1
	v_add_nc_u32_e32 v42, v43, v42
	s_delay_alu instid0(VALU_DEP_1) | instskip(NEXT) | instid1(VALU_DEP_1)
	v_mov_b32_dpp v43, v42 row_shr:2 row_mask:0xf bank_mask:0xf
	v_cndmask_b32_e64 v43, 0, v43, s2
	s_delay_alu instid0(VALU_DEP_1) | instskip(NEXT) | instid1(VALU_DEP_1)
	v_add_nc_u32_e32 v42, v42, v43
	v_mov_b32_dpp v43, v42 row_shr:4 row_mask:0xf bank_mask:0xf
	s_delay_alu instid0(VALU_DEP_1) | instskip(NEXT) | instid1(VALU_DEP_1)
	v_cndmask_b32_e64 v43, 0, v43, s3
	v_add_nc_u32_e32 v42, v42, v43
	s_delay_alu instid0(VALU_DEP_1) | instskip(NEXT) | instid1(VALU_DEP_1)
	v_mov_b32_dpp v43, v42 row_shr:8 row_mask:0xf bank_mask:0xf
	v_cndmask_b32_e64 v43, 0, v43, s4
	s_delay_alu instid0(VALU_DEP_1)
	v_add_nc_u32_e32 v42, v42, v43
	ds_store_b32 v22, v42
.LBB44_16:                              ;   in Loop: Header=BB44_6 Depth=2
	s_or_b32 exec_lo, exec_lo, s12
	v_mov_b32_e32 v42, 0
	s_waitcnt lgkmcnt(0)
	s_barrier
	buffer_gl0_inv
	s_and_saveexec_b32 s12, s8
	s_cbranch_execz .LBB44_18
; %bb.17:                               ;   in Loop: Header=BB44_6 Depth=2
	ds_load_b32 v42, v23
.LBB44_18:                              ;   in Loop: Header=BB44_6 Depth=2
	s_or_b32 exec_lo, exec_lo, s12
	s_waitcnt lgkmcnt(0)
	v_add_nc_u32_e32 v3, v42, v3
	s_cmp_gt_u32 s13, 23
	ds_bpermute_b32 v3, v20, v3
	s_waitcnt lgkmcnt(0)
	v_cndmask_b32_e64 v3, v3, v42, s9
	s_delay_alu instid0(VALU_DEP_1) | instskip(NEXT) | instid1(VALU_DEP_1)
	v_cndmask_b32_e64 v3, v3, 0, s10
	v_add_nc_u32_e32 v4, v3, v4
	s_delay_alu instid0(VALU_DEP_1) | instskip(NEXT) | instid1(VALU_DEP_1)
	v_add_nc_u32_e32 v5, v4, v5
	v_add_nc_u32_e32 v6, v5, v6
	s_delay_alu instid0(VALU_DEP_1) | instskip(NEXT) | instid1(VALU_DEP_1)
	v_add_nc_u32_e32 v42, v6, v7
	;; [unrolled: 3-line block ×3, first 2 shown]
	v_add_nc_u32_e32 v1, v0, v2
	ds_store_2addr_b64 v9, v[3:4], v[5:6] offset0:8 offset1:9
	ds_store_2addr_b64 v17, v[42:43], v[0:1] offset0:2 offset1:3
	s_waitcnt lgkmcnt(0)
	s_barrier
	buffer_gl0_inv
	ds_load_b32 v0, v35
	ds_load_b32 v1, v38
	;; [unrolled: 1-line block ×3, first 2 shown]
	s_waitcnt lgkmcnt(2)
	v_add_nc_u32_e32 v5, v0, v34
	s_waitcnt lgkmcnt(1)
	v_add3_u32 v4, v37, v36, v1
	s_waitcnt lgkmcnt(0)
	v_add3_u32 v3, v40, v39, v2
	s_cbranch_scc0 .LBB44_5
; %bb.19:                               ;   in Loop: Header=BB44_2 Depth=1
                                        ; implicit-def: $vgpr2
                                        ; implicit-def: $vgpr1
                                        ; implicit-def: $sgpr13
.LBB44_20:                              ;   in Loop: Header=BB44_2 Depth=1
	v_lshlrev_b32_e32 v0, 2, v5
	v_lshlrev_b32_e32 v1, 2, v4
	s_delay_alu instid0(VALU_DEP_3)
	v_lshlrev_b32_e32 v2, 2, v3
	s_barrier
	buffer_gl0_inv
	ds_store_b32 v0, v31
	ds_store_b32 v1, v33
	;; [unrolled: 1-line block ×3, first 2 shown]
	s_waitcnt lgkmcnt(0)
	s_barrier
	buffer_gl0_inv
	ds_load_2addr_b32 v[0:1], v26 offset1:1
	ds_load_b32 v4, v26 offset:8
	s_waitcnt lgkmcnt(0)
	s_barrier
	buffer_gl0_inv
	s_and_saveexec_b32 s12, s0
	s_cbranch_execz .LBB44_22
; %bb.21:                               ;   in Loop: Header=BB44_2 Depth=1
	ds_store_2addr_stride64_b32 v22, v30, v30 offset0:16 offset1:24
.LBB44_22:                              ;   in Loop: Header=BB44_2 Depth=1
	s_or_b32 exec_lo, exec_lo, s12
	v_xor_b32_e32 v3, 0x80000000, v4
	v_xor_b32_e32 v2, 0x80000000, v1
	v_cmp_ne_u32_e32 vcc_lo, v1, v4
	s_waitcnt lgkmcnt(0)
	s_barrier
	v_mov_b32_e32 v4, v3
	buffer_gl0_inv
	ds_store_b32 v22, v3
	s_and_saveexec_b32 s12, vcc_lo
	s_cbranch_execz .LBB44_24
; %bb.23:                               ;   in Loop: Header=BB44_2 Depth=1
	v_dual_mov_b32 v4, v2 :: v_dual_lshlrev_b32 v1, 2, v3
	v_lshlrev_b32_e32 v5, 2, v2
	ds_store_b32 v1, v28 offset:4096
	ds_store_b32 v5, v28 offset:6144
.LBB44_24:                              ;   in Loop: Header=BB44_2 Depth=1
	s_or_b32 exec_lo, exec_lo, s12
	v_xor_b32_e32 v1, 0x80000000, v0
	s_mov_b32 s12, exec_lo
	s_delay_alu instid0(VALU_DEP_1)
	v_lshlrev_b32_e32 v0, 2, v1
	v_cmpx_ne_u32_e64 v1, v4
	s_cbranch_execz .LBB44_26
; %bb.25:                               ;   in Loop: Header=BB44_2 Depth=1
	v_lshlrev_b32_e32 v4, 2, v4
	ds_store_b32 v4, v27 offset:4096
	ds_store_b32 v0, v27 offset:6144
.LBB44_26:                              ;   in Loop: Header=BB44_2 Depth=1
	s_or_b32 exec_lo, exec_lo, s12
	s_waitcnt lgkmcnt(0)
	s_barrier
	buffer_gl0_inv
	s_and_saveexec_b32 s12, s11
	s_cbranch_execz .LBB44_29
; %bb.27:                               ;   in Loop: Header=BB44_2 Depth=1
	ds_load_b32 v4, v29
	s_waitcnt lgkmcnt(0)
	v_cmp_ne_u32_e32 vcc_lo, v4, v1
	s_and_b32 exec_lo, exec_lo, vcc_lo
	s_cbranch_execz .LBB44_29
; %bb.28:                               ;   in Loop: Header=BB44_2 Depth=1
	ds_store_b32 v0, v25 offset:4096
	ds_load_b32 v4, v29
	s_waitcnt lgkmcnt(0)
	v_lshlrev_b32_e32 v4, 2, v4
	ds_store_b32 v4, v25 offset:6144
.LBB44_29:                              ;   in Loop: Header=BB44_2 Depth=1
	s_or_b32 exec_lo, exec_lo, s12
	s_waitcnt lgkmcnt(0)
	s_barrier
	buffer_gl0_inv
	s_and_saveexec_b32 s12, s10
	s_cbranch_execz .LBB44_31
; %bb.30:                               ;   in Loop: Header=BB44_2 Depth=1
	ds_store_b32 v0, v10 offset:4096
.LBB44_31:                              ;   in Loop: Header=BB44_2 Depth=1
	s_or_b32 exec_lo, exec_lo, s12
	s_waitcnt lgkmcnt(0)
	s_barrier
	buffer_gl0_inv
	s_and_saveexec_b32 s12, s0
	s_cbranch_execz .LBB44_1
; %bb.32:                               ;   in Loop: Header=BB44_2 Depth=1
	ds_load_2addr_stride64_b32 v[4:5], v22 offset0:16 offset1:24
	ds_load_b32 v0, v19
	s_waitcnt lgkmcnt(1)
	v_sub_nc_u32_e32 v4, v5, v4
	s_waitcnt lgkmcnt(0)
	s_delay_alu instid0(VALU_DEP_1)
	v_add_nc_u32_e32 v0, v4, v0
	ds_store_b32 v19, v0
	s_branch .LBB44_1
.LBB44_33:
	s_and_saveexec_b32 s1, s0
	s_cbranch_execz .LBB44_35
; %bb.34:
	ds_load_b32 v2, v19
	v_mov_b32_e32 v9, 0
	s_delay_alu instid0(VALU_DEP_1) | instskip(NEXT) | instid1(VALU_DEP_1)
	v_lshlrev_b64 v[0:1], 2, v[8:9]
	v_add_co_u32 v0, vcc_lo, s14, v0
	s_delay_alu instid0(VALU_DEP_2)
	v_add_co_ci_u32_e32 v1, vcc_lo, s15, v1, vcc_lo
	s_waitcnt lgkmcnt(0)
	global_store_b32 v[0:1], v2, off
.LBB44_35:
	s_nop 0
	s_sendmsg sendmsg(MSG_DEALLOC_VGPRS)
	s_endpgm
	.section	.rodata,"a",@progbits
	.p2align	6, 0x0
	.amdhsa_kernel _Z6kernelI9histogramILN6hipcub23BlockHistogramAlgorithmE1EEiLj512ELj3ELj512ELj100EEvPKT0_PS4_
		.amdhsa_group_segment_fixed_size 18496
		.amdhsa_private_segment_fixed_size 0
		.amdhsa_kernarg_size 272
		.amdhsa_user_sgpr_count 15
		.amdhsa_user_sgpr_dispatch_ptr 0
		.amdhsa_user_sgpr_queue_ptr 0
		.amdhsa_user_sgpr_kernarg_segment_ptr 1
		.amdhsa_user_sgpr_dispatch_id 0
		.amdhsa_user_sgpr_private_segment_size 0
		.amdhsa_wavefront_size32 1
		.amdhsa_uses_dynamic_stack 0
		.amdhsa_enable_private_segment 0
		.amdhsa_system_sgpr_workgroup_id_x 1
		.amdhsa_system_sgpr_workgroup_id_y 0
		.amdhsa_system_sgpr_workgroup_id_z 0
		.amdhsa_system_sgpr_workgroup_info 0
		.amdhsa_system_vgpr_workitem_id 2
		.amdhsa_next_free_vgpr 44
		.amdhsa_next_free_sgpr 18
		.amdhsa_reserve_vcc 1
		.amdhsa_float_round_mode_32 0
		.amdhsa_float_round_mode_16_64 0
		.amdhsa_float_denorm_mode_32 3
		.amdhsa_float_denorm_mode_16_64 3
		.amdhsa_dx10_clamp 1
		.amdhsa_ieee_mode 1
		.amdhsa_fp16_overflow 0
		.amdhsa_workgroup_processor_mode 1
		.amdhsa_memory_ordered 1
		.amdhsa_forward_progress 0
		.amdhsa_shared_vgpr_count 0
		.amdhsa_exception_fp_ieee_invalid_op 0
		.amdhsa_exception_fp_denorm_src 0
		.amdhsa_exception_fp_ieee_div_zero 0
		.amdhsa_exception_fp_ieee_overflow 0
		.amdhsa_exception_fp_ieee_underflow 0
		.amdhsa_exception_fp_ieee_inexact 0
		.amdhsa_exception_int_div_zero 0
	.end_amdhsa_kernel
	.section	.text._Z6kernelI9histogramILN6hipcub23BlockHistogramAlgorithmE1EEiLj512ELj3ELj512ELj100EEvPKT0_PS4_,"axG",@progbits,_Z6kernelI9histogramILN6hipcub23BlockHistogramAlgorithmE1EEiLj512ELj3ELj512ELj100EEvPKT0_PS4_,comdat
.Lfunc_end44:
	.size	_Z6kernelI9histogramILN6hipcub23BlockHistogramAlgorithmE1EEiLj512ELj3ELj512ELj100EEvPKT0_PS4_, .Lfunc_end44-_Z6kernelI9histogramILN6hipcub23BlockHistogramAlgorithmE1EEiLj512ELj3ELj512ELj100EEvPKT0_PS4_
                                        ; -- End function
	.section	.AMDGPU.csdata,"",@progbits
; Kernel info:
; codeLenInByte = 2944
; NumSgprs: 20
; NumVgprs: 44
; ScratchSize: 0
; MemoryBound: 0
; FloatMode: 240
; IeeeMode: 1
; LDSByteSize: 18496 bytes/workgroup (compile time only)
; SGPRBlocks: 2
; VGPRBlocks: 5
; NumSGPRsForWavesPerEU: 20
; NumVGPRsForWavesPerEU: 44
; Occupancy: 16
; WaveLimiterHint : 0
; COMPUTE_PGM_RSRC2:SCRATCH_EN: 0
; COMPUTE_PGM_RSRC2:USER_SGPR: 15
; COMPUTE_PGM_RSRC2:TRAP_HANDLER: 0
; COMPUTE_PGM_RSRC2:TGID_X_EN: 1
; COMPUTE_PGM_RSRC2:TGID_Y_EN: 0
; COMPUTE_PGM_RSRC2:TGID_Z_EN: 0
; COMPUTE_PGM_RSRC2:TIDIG_COMP_CNT: 2
	.section	.text._Z6kernelI9histogramILN6hipcub23BlockHistogramAlgorithmE1EEiLj512ELj4ELj512ELj100EEvPKT0_PS4_,"axG",@progbits,_Z6kernelI9histogramILN6hipcub23BlockHistogramAlgorithmE1EEiLj512ELj4ELj512ELj100EEvPKT0_PS4_,comdat
	.protected	_Z6kernelI9histogramILN6hipcub23BlockHistogramAlgorithmE1EEiLj512ELj4ELj512ELj100EEvPKT0_PS4_ ; -- Begin function _Z6kernelI9histogramILN6hipcub23BlockHistogramAlgorithmE1EEiLj512ELj4ELj512ELj100EEvPKT0_PS4_
	.globl	_Z6kernelI9histogramILN6hipcub23BlockHistogramAlgorithmE1EEiLj512ELj4ELj512ELj100EEvPKT0_PS4_
	.p2align	8
	.type	_Z6kernelI9histogramILN6hipcub23BlockHistogramAlgorithmE1EEiLj512ELj4ELj512ELj100EEvPKT0_PS4_,@function
_Z6kernelI9histogramILN6hipcub23BlockHistogramAlgorithmE1EEiLj512ELj4ELj512ELj100EEvPKT0_PS4_: ; @_Z6kernelI9histogramILN6hipcub23BlockHistogramAlgorithmE1EEiLj512ELj4ELj512ELj100EEvPKT0_PS4_
; %bb.0:
	v_mbcnt_lo_u32_b32 v7, -1, 0
	v_and_b32_e32 v9, 0x3ff, v0
	s_clause 0x1
	s_load_b128 s[16:19], s[0:1], 0x0
	s_load_b32 s3, s[0:1], 0x1c
	v_bfe_u32 v5, v0, 10, 10
	v_dual_mov_b32 v11, 0 :: v_dual_lshlrev_b32 v16, 2, v9
	v_bfe_u32 v0, v0, 20, 10
	s_mov_b32 s20, 0
	v_cmp_eq_u32_e64 s12, 0, v7
	s_mov_b32 s21, s20
	v_lshl_or_b32 v10, s15, 11, v16
	v_and_b32_e32 v8, 3, v7
	v_or_b32_e32 v31, 1, v16
	v_or_b32_e32 v32, 2, v16
	;; [unrolled: 1-line block ×3, first 2 shown]
	v_lshlrev_b64 v[1:2], 2, v[10:11]
	v_add_nc_u32_e32 v26, 0x4040, v16
	v_dual_mov_b32 v35, 0x800 :: v_dual_mov_b32 v12, s20
	v_mov_b32_e32 v13, s21
	v_cmp_eq_u32_e64 s1, 3, v8
	s_waitcnt lgkmcnt(0)
	v_add_co_u32 v1, vcc_lo, s16, v1
	v_add_co_ci_u32_e32 v2, vcc_lo, s17, v2, vcc_lo
	s_lshr_b32 s2, s3, 16
	s_mov_b32 s16, s20
	v_mad_u32_u24 v0, v0, s2, v5
	global_load_b128 v[1:4], v[1:2], off
	s_mov_b32 s17, s20
	v_and_b32_e32 v10, 28, v7
	s_and_b32 s3, s3, 0xffff
	v_dual_mov_b32 v14, s16 :: v_dual_mov_b32 v15, s17
	v_cmp_eq_u32_e64 s2, 2, v8
	s_delay_alu instid0(VALU_DEP_3)
	v_mad_u64_u32 v[5:6], null, v0, s3, v[9:10]
	v_cmp_eq_u32_e64 s3, 1, v8
	v_add_nc_u32_e32 v8, -1, v7
	v_and_b32_e32 v0, 15, v7
	v_or_b32_e32 v18, 32, v10
	v_or_b32_e32 v19, 64, v10
	;; [unrolled: 1-line block ×3, first 2 shown]
	v_lshrrev_b32_e32 v22, 5, v5
	v_and_b32_e32 v5, 16, v7
	v_cmp_gt_i32_e32 vcc_lo, 0, v8
	v_cmp_eq_u32_e64 s4, 0, v0
	v_cmp_lt_u32_e64 s5, 1, v0
	v_cmp_lt_u32_e64 s6, 3, v0
	;; [unrolled: 1-line block ×3, first 2 shown]
	v_dual_cndmask_b32 v0, v8, v7 :: v_dual_lshlrev_b32 v17, 5, v9
	v_cmp_eq_u32_e64 s8, 0, v5
	v_lshrrev_b32_e32 v5, 3, v9
	v_or_b32_e32 v6, 31, v9
	s_delay_alu instid0(VALU_DEP_4)
	v_lshlrev_b32_e32 v24, 2, v0
	v_mad_i32_i24 v23, 0xffffffe4, v9, v17
	v_and_or_b32 v0, 0x780, v16, v7
	v_and_b32_e32 v25, 60, v5
	v_cmp_gt_u32_e64 s0, 0x200, v9
	v_add_nc_u32_e32 v21, 64, v17
	v_mad_u32_u24 v27, v9, 12, v23
	v_cmp_eq_u32_e64 s9, v6, v9
	v_cmp_gt_u32_e64 s10, 16, v9
	v_cmp_lt_u32_e64 s11, 31, v9
	v_cmp_eq_u32_e64 s13, 0, v9
	v_mad_i32_i24 v30, v9, -12, v27
	v_cmp_ne_u32_e64 s14, 0, v9
	v_add_nc_u32_e32 v28, -4, v25
	v_lshlrev_b32_e32 v29, 2, v0
	s_delay_alu instid0(VALU_DEP_4)
	v_add_nc_u32_e32 v34, -4, v30
	s_branch .LBB45_2
.LBB45_1:                               ;   in Loop: Header=BB45_2 Depth=1
	s_or_b32 exec_lo, exec_lo, s16
	s_add_i32 s20, s20, 1
	s_delay_alu instid0(SALU_CYCLE_1)
	s_cmpk_eq_i32 s20, 0x64
	s_cbranch_scc1 .LBB45_37
.LBB45_2:                               ; =>This Loop Header: Depth=1
                                        ;     Child Loop BB45_6 Depth 2
	s_and_saveexec_b32 s16, s0
	s_cbranch_execz .LBB45_4
; %bb.3:                                ;   in Loop: Header=BB45_2 Depth=1
	ds_store_b32 v26, v11
.LBB45_4:                               ;   in Loop: Header=BB45_2 Depth=1
	s_or_b32 exec_lo, exec_lo, s16
	s_waitcnt vmcnt(0)
	v_xor_b32_e32 v0, 0x80000000, v1
	v_xor_b32_e32 v1, 0x80000000, v2
	;; [unrolled: 1-line block ×4, first 2 shown]
	s_mov_b32 s17, 0
	ds_bpermute_b32 v3, v10, v0
	ds_bpermute_b32 v5, v10, v1
	;; [unrolled: 1-line block ×16, first 2 shown]
	s_waitcnt lgkmcnt(0)
	s_barrier
	buffer_gl0_inv
	s_barrier
	v_cndmask_b32_e64 v3, v3, v5, s3
	v_cndmask_b32_e64 v5, v6, v7, s3
	;; [unrolled: 1-line block ×4, first 2 shown]
	s_delay_alu instid0(VALU_DEP_4) | instskip(NEXT) | instid1(VALU_DEP_4)
	v_cndmask_b32_e64 v1, v3, v37, s2
	v_cndmask_b32_e64 v3, v5, v38, s2
	s_delay_alu instid0(VALU_DEP_4) | instskip(NEXT) | instid1(VALU_DEP_4)
	v_cndmask_b32_e64 v5, v6, v39, s2
	v_cndmask_b32_e64 v6, v0, v2, s2
	;; [unrolled: 3-line block ×4, first 2 shown]
	s_branch .LBB45_6
.LBB45_5:                               ;   in Loop: Header=BB45_6 Depth=2
	v_lshlrev_b32_e32 v0, 2, v7
	v_lshlrev_b32_e32 v1, 2, v6
	;; [unrolled: 1-line block ×4, first 2 shown]
	s_barrier
	buffer_gl0_inv
	ds_store_b32 v0, v8
	ds_store_b32 v1, v38
	;; [unrolled: 1-line block ×4, first 2 shown]
	s_waitcnt lgkmcnt(0)
	s_barrier
	buffer_gl0_inv
	ds_load_2addr_b32 v[0:1], v29 offset1:32
	ds_load_2addr_b32 v[2:3], v29 offset0:64 offset1:96
	s_add_i32 s17, s17, 8
	s_waitcnt lgkmcnt(0)
	s_barrier
	s_cbranch_execz .LBB45_22
.LBB45_6:                               ;   Parent Loop BB45_2 Depth=1
                                        ; =>  This Inner Loop Header: Depth=2
	v_mov_b32_e32 v8, v0
	buffer_gl0_inv
	ds_store_2addr_b64 v17, v[12:13], v[14:15] offset0:8 offset1:9
	ds_store_2addr_b64 v21, v[12:13], v[14:15] offset0:2 offset1:3
	s_waitcnt lgkmcnt(0)
	s_barrier
	v_lshrrev_b32_e32 v4, s17, v8
	buffer_gl0_inv
	; wave barrier
	v_lshlrev_b32_e32 v7, 29, v4
	v_bfe_u32 v0, v8, s17, 1
	v_lshlrev_b32_e32 v6, 30, v4
	v_lshlrev_b32_e32 v36, 28, v4
	;; [unrolled: 1-line block ×4, first 2 shown]
	v_add_co_u32 v0, s16, v0, -1
	s_delay_alu instid0(VALU_DEP_1) | instskip(SKIP_3) | instid1(VALU_DEP_4)
	v_cndmask_b32_e64 v5, 0, 1, s16
	v_cmp_gt_i32_e64 s16, 0, v6
	v_lshlrev_b32_e32 v39, 25, v4
	v_lshlrev_b32_e32 v4, 24, v4
	v_cmp_ne_u32_e32 vcc_lo, 0, v5
	v_not_b32_e32 v5, v6
	v_not_b32_e32 v6, v7
	v_xor_b32_e32 v0, vcc_lo, v0
	s_delay_alu instid0(VALU_DEP_3)
	v_ashrrev_i32_e32 v5, 31, v5
	v_cmp_gt_i32_e32 vcc_lo, 0, v7
	v_not_b32_e32 v7, v36
	v_ashrrev_i32_e32 v6, 31, v6
	v_and_b32_e32 v0, exec_lo, v0
	v_xor_b32_e32 v5, s16, v5
	v_cmp_gt_i32_e64 s16, 0, v36
	v_not_b32_e32 v36, v37
	v_ashrrev_i32_e32 v7, 31, v7
	v_xor_b32_e32 v6, vcc_lo, v6
	v_and_b32_e32 v0, v0, v5
	v_cmp_gt_i32_e32 vcc_lo, 0, v37
	v_not_b32_e32 v5, v38
	v_ashrrev_i32_e32 v36, 31, v36
	v_xor_b32_e32 v7, s16, v7
	v_and_b32_e32 v0, v0, v6
	v_cmp_gt_i32_e64 s16, 0, v38
	v_mov_b32_e32 v38, v1
	v_not_b32_e32 v6, v39
	v_ashrrev_i32_e32 v5, 31, v5
	v_xor_b32_e32 v36, vcc_lo, v36
	v_and_b32_e32 v0, v0, v7
	v_cmp_gt_i32_e32 vcc_lo, 0, v39
	v_not_b32_e32 v7, v4
	v_ashrrev_i32_e32 v6, 31, v6
	v_xor_b32_e32 v5, s16, v5
	v_and_b32_e32 v0, v0, v36
	v_cmp_gt_i32_e64 s16, 0, v4
	v_ashrrev_i32_e32 v4, 31, v7
	v_xor_b32_e32 v6, vcc_lo, v6
	v_bfe_u32 v1, v8, s17, 8
	v_and_b32_e32 v0, v0, v5
	v_mov_b32_e32 v36, v3
	v_xor_b32_e32 v4, s16, v4
	v_mov_b32_e32 v37, v2
	v_lshl_add_u32 v1, v1, 4, v22
	v_and_b32_e32 v0, v0, v6
	s_delay_alu instid0(VALU_DEP_2) | instskip(NEXT) | instid1(VALU_DEP_2)
	v_lshl_add_u32 v40, v1, 2, 64
	v_and_b32_e32 v0, v0, v4
	s_delay_alu instid0(VALU_DEP_1) | instskip(SKIP_1) | instid1(VALU_DEP_2)
	v_mbcnt_lo_u32_b32 v39, v0, 0
	v_cmp_ne_u32_e64 s16, 0, v0
	v_cmp_eq_u32_e32 vcc_lo, 0, v39
	s_delay_alu instid0(VALU_DEP_2) | instskip(NEXT) | instid1(SALU_CYCLE_1)
	s_and_b32 s21, s16, vcc_lo
	s_and_saveexec_b32 s16, s21
	s_cbranch_execz .LBB45_8
; %bb.7:                                ;   in Loop: Header=BB45_6 Depth=2
	v_bcnt_u32_b32 v0, v0, 0
	ds_store_b32 v40, v0
.LBB45_8:                               ;   in Loop: Header=BB45_6 Depth=2
	s_or_b32 exec_lo, exec_lo, s16
	v_bfe_u32 v0, v38, s17, 1
	v_lshrrev_b32_e32 v1, s17, v38
	; wave barrier
	s_delay_alu instid0(VALU_DEP_2) | instskip(NEXT) | instid1(VALU_DEP_1)
	v_add_co_u32 v0, s16, v0, -1
	v_cndmask_b32_e64 v2, 0, 1, s16
	s_delay_alu instid0(VALU_DEP_3)
	v_lshlrev_b32_e32 v3, 30, v1
	v_lshlrev_b32_e32 v4, 29, v1
	v_lshlrev_b32_e32 v5, 28, v1
	v_lshlrev_b32_e32 v6, 27, v1
	v_cmp_ne_u32_e32 vcc_lo, 0, v2
	v_not_b32_e32 v2, v3
	v_cmp_gt_i32_e64 s16, 0, v3
	v_not_b32_e32 v3, v4
	v_lshlrev_b32_e32 v7, 26, v1
	v_xor_b32_e32 v0, vcc_lo, v0
	v_ashrrev_i32_e32 v2, 31, v2
	v_cmp_gt_i32_e32 vcc_lo, 0, v4
	v_not_b32_e32 v4, v5
	v_ashrrev_i32_e32 v3, 31, v3
	v_and_b32_e32 v0, exec_lo, v0
	v_xor_b32_e32 v2, s16, v2
	v_cmp_gt_i32_e64 s16, 0, v5
	v_not_b32_e32 v5, v6
	v_ashrrev_i32_e32 v4, 31, v4
	v_xor_b32_e32 v3, vcc_lo, v3
	v_and_b32_e32 v0, v0, v2
	v_cmp_gt_i32_e32 vcc_lo, 0, v6
	v_not_b32_e32 v2, v7
	v_ashrrev_i32_e32 v5, 31, v5
	v_xor_b32_e32 v4, s16, v4
	v_and_b32_e32 v0, v0, v3
	v_lshlrev_b32_e32 v3, 25, v1
	v_cmp_gt_i32_e64 s16, 0, v7
	v_ashrrev_i32_e32 v2, 31, v2
	v_xor_b32_e32 v5, vcc_lo, v5
	v_and_b32_e32 v0, v0, v4
	v_not_b32_e32 v6, v3
	v_lshlrev_b32_e32 v1, 24, v1
	v_bfe_u32 v4, v38, s17, 8
	v_xor_b32_e32 v2, s16, v2
	v_and_b32_e32 v0, v0, v5
	v_cmp_gt_i32_e32 vcc_lo, 0, v3
	v_ashrrev_i32_e32 v3, 31, v6
	v_not_b32_e32 v5, v1
	v_lshlrev_b32_e32 v4, 4, v4
	v_and_b32_e32 v0, v0, v2
	s_delay_alu instid0(VALU_DEP_4) | instskip(SKIP_3) | instid1(VALU_DEP_4)
	v_xor_b32_e32 v2, vcc_lo, v3
	v_cmp_gt_i32_e32 vcc_lo, 0, v1
	v_ashrrev_i32_e32 v1, 31, v5
	v_add_lshl_u32 v3, v4, v22, 2
	v_and_b32_e32 v0, v0, v2
	s_delay_alu instid0(VALU_DEP_3) | instskip(SKIP_3) | instid1(VALU_DEP_1)
	v_xor_b32_e32 v1, vcc_lo, v1
	ds_load_b32 v41, v3 offset:64
	v_add_nc_u32_e32 v43, 64, v3
	; wave barrier
	v_and_b32_e32 v0, v0, v1
	v_mbcnt_lo_u32_b32 v42, v0, 0
	v_cmp_ne_u32_e64 s16, 0, v0
	s_delay_alu instid0(VALU_DEP_2) | instskip(NEXT) | instid1(VALU_DEP_2)
	v_cmp_eq_u32_e32 vcc_lo, 0, v42
	s_and_b32 s21, s16, vcc_lo
	s_delay_alu instid0(SALU_CYCLE_1)
	s_and_saveexec_b32 s16, s21
	s_cbranch_execz .LBB45_10
; %bb.9:                                ;   in Loop: Header=BB45_6 Depth=2
	s_waitcnt lgkmcnt(0)
	v_bcnt_u32_b32 v0, v0, v41
	ds_store_b32 v43, v0
.LBB45_10:                              ;   in Loop: Header=BB45_6 Depth=2
	s_or_b32 exec_lo, exec_lo, s16
	v_bfe_u32 v0, v37, s17, 1
	v_lshrrev_b32_e32 v1, s17, v37
	; wave barrier
	s_delay_alu instid0(VALU_DEP_2) | instskip(NEXT) | instid1(VALU_DEP_1)
	v_add_co_u32 v0, s16, v0, -1
	v_cndmask_b32_e64 v2, 0, 1, s16
	s_delay_alu instid0(VALU_DEP_3)
	v_lshlrev_b32_e32 v3, 30, v1
	v_lshlrev_b32_e32 v4, 29, v1
	;; [unrolled: 1-line block ×4, first 2 shown]
	v_cmp_ne_u32_e32 vcc_lo, 0, v2
	v_not_b32_e32 v2, v3
	v_cmp_gt_i32_e64 s16, 0, v3
	v_not_b32_e32 v3, v4
	v_lshlrev_b32_e32 v7, 26, v1
	v_xor_b32_e32 v0, vcc_lo, v0
	v_ashrrev_i32_e32 v2, 31, v2
	v_cmp_gt_i32_e32 vcc_lo, 0, v4
	v_not_b32_e32 v4, v5
	v_ashrrev_i32_e32 v3, 31, v3
	v_and_b32_e32 v0, exec_lo, v0
	v_xor_b32_e32 v2, s16, v2
	v_cmp_gt_i32_e64 s16, 0, v5
	v_not_b32_e32 v5, v6
	v_ashrrev_i32_e32 v4, 31, v4
	v_xor_b32_e32 v3, vcc_lo, v3
	v_and_b32_e32 v0, v0, v2
	v_cmp_gt_i32_e32 vcc_lo, 0, v6
	v_not_b32_e32 v2, v7
	v_ashrrev_i32_e32 v5, 31, v5
	v_xor_b32_e32 v4, s16, v4
	v_and_b32_e32 v0, v0, v3
	v_lshlrev_b32_e32 v3, 25, v1
	v_cmp_gt_i32_e64 s16, 0, v7
	v_ashrrev_i32_e32 v2, 31, v2
	v_xor_b32_e32 v5, vcc_lo, v5
	v_and_b32_e32 v0, v0, v4
	v_not_b32_e32 v6, v3
	v_lshlrev_b32_e32 v1, 24, v1
	v_bfe_u32 v4, v37, s17, 8
	v_xor_b32_e32 v2, s16, v2
	v_and_b32_e32 v0, v0, v5
	v_cmp_gt_i32_e32 vcc_lo, 0, v3
	v_ashrrev_i32_e32 v3, 31, v6
	v_not_b32_e32 v5, v1
	v_lshlrev_b32_e32 v4, 4, v4
	v_and_b32_e32 v0, v0, v2
	s_delay_alu instid0(VALU_DEP_4) | instskip(SKIP_3) | instid1(VALU_DEP_4)
	v_xor_b32_e32 v2, vcc_lo, v3
	v_cmp_gt_i32_e32 vcc_lo, 0, v1
	v_ashrrev_i32_e32 v1, 31, v5
	v_add_lshl_u32 v3, v4, v22, 2
	v_and_b32_e32 v0, v0, v2
	s_delay_alu instid0(VALU_DEP_3) | instskip(SKIP_3) | instid1(VALU_DEP_1)
	v_xor_b32_e32 v1, vcc_lo, v1
	ds_load_b32 v44, v3 offset:64
	v_add_nc_u32_e32 v46, 64, v3
	; wave barrier
	v_and_b32_e32 v0, v0, v1
	v_mbcnt_lo_u32_b32 v45, v0, 0
	v_cmp_ne_u32_e64 s16, 0, v0
	s_delay_alu instid0(VALU_DEP_2) | instskip(NEXT) | instid1(VALU_DEP_2)
	v_cmp_eq_u32_e32 vcc_lo, 0, v45
	s_and_b32 s21, s16, vcc_lo
	s_delay_alu instid0(SALU_CYCLE_1)
	s_and_saveexec_b32 s16, s21
	s_cbranch_execz .LBB45_12
; %bb.11:                               ;   in Loop: Header=BB45_6 Depth=2
	s_waitcnt lgkmcnt(0)
	v_bcnt_u32_b32 v0, v0, v44
	ds_store_b32 v46, v0
.LBB45_12:                              ;   in Loop: Header=BB45_6 Depth=2
	s_or_b32 exec_lo, exec_lo, s16
	v_bfe_u32 v0, v36, s17, 1
	v_lshrrev_b32_e32 v1, s17, v36
	; wave barrier
	s_delay_alu instid0(VALU_DEP_2) | instskip(NEXT) | instid1(VALU_DEP_1)
	v_add_co_u32 v0, s16, v0, -1
	v_cndmask_b32_e64 v2, 0, 1, s16
	s_delay_alu instid0(VALU_DEP_3)
	v_lshlrev_b32_e32 v3, 30, v1
	v_lshlrev_b32_e32 v4, 29, v1
	v_lshlrev_b32_e32 v5, 28, v1
	v_lshlrev_b32_e32 v6, 27, v1
	v_cmp_ne_u32_e32 vcc_lo, 0, v2
	v_not_b32_e32 v2, v3
	v_cmp_gt_i32_e64 s16, 0, v3
	v_not_b32_e32 v3, v4
	v_lshlrev_b32_e32 v7, 26, v1
	v_xor_b32_e32 v0, vcc_lo, v0
	v_ashrrev_i32_e32 v2, 31, v2
	v_cmp_gt_i32_e32 vcc_lo, 0, v4
	v_not_b32_e32 v4, v5
	v_ashrrev_i32_e32 v3, 31, v3
	v_and_b32_e32 v0, exec_lo, v0
	v_xor_b32_e32 v2, s16, v2
	v_cmp_gt_i32_e64 s16, 0, v5
	v_not_b32_e32 v5, v6
	v_ashrrev_i32_e32 v4, 31, v4
	v_xor_b32_e32 v3, vcc_lo, v3
	v_and_b32_e32 v0, v0, v2
	v_cmp_gt_i32_e32 vcc_lo, 0, v6
	v_not_b32_e32 v2, v7
	v_ashrrev_i32_e32 v5, 31, v5
	v_xor_b32_e32 v4, s16, v4
	v_and_b32_e32 v0, v0, v3
	v_lshlrev_b32_e32 v3, 25, v1
	v_cmp_gt_i32_e64 s16, 0, v7
	v_ashrrev_i32_e32 v2, 31, v2
	v_xor_b32_e32 v5, vcc_lo, v5
	v_and_b32_e32 v0, v0, v4
	v_not_b32_e32 v6, v3
	v_lshlrev_b32_e32 v1, 24, v1
	v_bfe_u32 v4, v36, s17, 8
	v_xor_b32_e32 v2, s16, v2
	v_and_b32_e32 v0, v0, v5
	v_cmp_gt_i32_e32 vcc_lo, 0, v3
	v_ashrrev_i32_e32 v3, 31, v6
	v_not_b32_e32 v5, v1
	v_lshlrev_b32_e32 v4, 4, v4
	v_and_b32_e32 v0, v0, v2
	s_delay_alu instid0(VALU_DEP_4) | instskip(SKIP_3) | instid1(VALU_DEP_4)
	v_xor_b32_e32 v2, vcc_lo, v3
	v_cmp_gt_i32_e32 vcc_lo, 0, v1
	v_ashrrev_i32_e32 v1, 31, v5
	v_add_lshl_u32 v3, v4, v22, 2
	v_and_b32_e32 v0, v0, v2
	s_delay_alu instid0(VALU_DEP_3) | instskip(SKIP_3) | instid1(VALU_DEP_1)
	v_xor_b32_e32 v1, vcc_lo, v1
	ds_load_b32 v47, v3 offset:64
	v_add_nc_u32_e32 v49, 64, v3
	; wave barrier
	v_and_b32_e32 v0, v0, v1
	v_mbcnt_lo_u32_b32 v48, v0, 0
	v_cmp_ne_u32_e64 s16, 0, v0
	s_delay_alu instid0(VALU_DEP_2) | instskip(NEXT) | instid1(VALU_DEP_2)
	v_cmp_eq_u32_e32 vcc_lo, 0, v48
	s_and_b32 s21, s16, vcc_lo
	s_delay_alu instid0(SALU_CYCLE_1)
	s_and_saveexec_b32 s16, s21
	s_cbranch_execz .LBB45_14
; %bb.13:                               ;   in Loop: Header=BB45_6 Depth=2
	s_waitcnt lgkmcnt(0)
	v_bcnt_u32_b32 v0, v0, v47
	ds_store_b32 v49, v0
.LBB45_14:                              ;   in Loop: Header=BB45_6 Depth=2
	s_or_b32 exec_lo, exec_lo, s16
	; wave barrier
	s_waitcnt lgkmcnt(0)
	s_barrier
	buffer_gl0_inv
	ds_load_2addr_b64 v[4:7], v17 offset0:8 offset1:9
	ds_load_2addr_b64 v[0:3], v21 offset0:2 offset1:3
	s_waitcnt lgkmcnt(1)
	v_add_nc_u32_e32 v50, v5, v4
	s_delay_alu instid0(VALU_DEP_1) | instskip(SKIP_1) | instid1(VALU_DEP_1)
	v_add3_u32 v50, v50, v6, v7
	s_waitcnt lgkmcnt(0)
	v_add3_u32 v50, v50, v0, v1
	s_delay_alu instid0(VALU_DEP_1) | instskip(NEXT) | instid1(VALU_DEP_1)
	v_add3_u32 v3, v50, v2, v3
	v_mov_b32_dpp v50, v3 row_shr:1 row_mask:0xf bank_mask:0xf
	s_delay_alu instid0(VALU_DEP_1) | instskip(NEXT) | instid1(VALU_DEP_1)
	v_cndmask_b32_e64 v50, v50, 0, s4
	v_add_nc_u32_e32 v3, v50, v3
	s_delay_alu instid0(VALU_DEP_1) | instskip(NEXT) | instid1(VALU_DEP_1)
	v_mov_b32_dpp v50, v3 row_shr:2 row_mask:0xf bank_mask:0xf
	v_cndmask_b32_e64 v50, 0, v50, s5
	s_delay_alu instid0(VALU_DEP_1) | instskip(NEXT) | instid1(VALU_DEP_1)
	v_add_nc_u32_e32 v3, v3, v50
	v_mov_b32_dpp v50, v3 row_shr:4 row_mask:0xf bank_mask:0xf
	s_delay_alu instid0(VALU_DEP_1) | instskip(NEXT) | instid1(VALU_DEP_1)
	v_cndmask_b32_e64 v50, 0, v50, s6
	v_add_nc_u32_e32 v3, v3, v50
	s_delay_alu instid0(VALU_DEP_1) | instskip(NEXT) | instid1(VALU_DEP_1)
	v_mov_b32_dpp v50, v3 row_shr:8 row_mask:0xf bank_mask:0xf
	v_cndmask_b32_e64 v50, 0, v50, s7
	s_delay_alu instid0(VALU_DEP_1) | instskip(SKIP_3) | instid1(VALU_DEP_1)
	v_add_nc_u32_e32 v3, v3, v50
	ds_swizzle_b32 v50, v3 offset:swizzle(BROADCAST,32,15)
	s_waitcnt lgkmcnt(0)
	v_cndmask_b32_e64 v50, v50, 0, s8
	v_add_nc_u32_e32 v3, v3, v50
	s_and_saveexec_b32 s16, s9
	s_cbranch_execz .LBB45_16
; %bb.15:                               ;   in Loop: Header=BB45_6 Depth=2
	ds_store_b32 v25, v3
.LBB45_16:                              ;   in Loop: Header=BB45_6 Depth=2
	s_or_b32 exec_lo, exec_lo, s16
	s_waitcnt lgkmcnt(0)
	s_barrier
	buffer_gl0_inv
	s_and_saveexec_b32 s16, s10
	s_cbranch_execz .LBB45_18
; %bb.17:                               ;   in Loop: Header=BB45_6 Depth=2
	ds_load_b32 v50, v23
	s_waitcnt lgkmcnt(0)
	v_mov_b32_dpp v51, v50 row_shr:1 row_mask:0xf bank_mask:0xf
	s_delay_alu instid0(VALU_DEP_1) | instskip(NEXT) | instid1(VALU_DEP_1)
	v_cndmask_b32_e64 v51, v51, 0, s4
	v_add_nc_u32_e32 v50, v51, v50
	s_delay_alu instid0(VALU_DEP_1) | instskip(NEXT) | instid1(VALU_DEP_1)
	v_mov_b32_dpp v51, v50 row_shr:2 row_mask:0xf bank_mask:0xf
	v_cndmask_b32_e64 v51, 0, v51, s5
	s_delay_alu instid0(VALU_DEP_1) | instskip(NEXT) | instid1(VALU_DEP_1)
	v_add_nc_u32_e32 v50, v50, v51
	v_mov_b32_dpp v51, v50 row_shr:4 row_mask:0xf bank_mask:0xf
	s_delay_alu instid0(VALU_DEP_1) | instskip(NEXT) | instid1(VALU_DEP_1)
	v_cndmask_b32_e64 v51, 0, v51, s6
	v_add_nc_u32_e32 v50, v50, v51
	s_delay_alu instid0(VALU_DEP_1) | instskip(NEXT) | instid1(VALU_DEP_1)
	v_mov_b32_dpp v51, v50 row_shr:8 row_mask:0xf bank_mask:0xf
	v_cndmask_b32_e64 v51, 0, v51, s7
	s_delay_alu instid0(VALU_DEP_1)
	v_add_nc_u32_e32 v50, v50, v51
	ds_store_b32 v23, v50
.LBB45_18:                              ;   in Loop: Header=BB45_6 Depth=2
	s_or_b32 exec_lo, exec_lo, s16
	v_mov_b32_e32 v50, 0
	s_waitcnt lgkmcnt(0)
	s_barrier
	buffer_gl0_inv
	s_and_saveexec_b32 s16, s11
	s_cbranch_execz .LBB45_20
; %bb.19:                               ;   in Loop: Header=BB45_6 Depth=2
	ds_load_b32 v50, v28
.LBB45_20:                              ;   in Loop: Header=BB45_6 Depth=2
	s_or_b32 exec_lo, exec_lo, s16
	s_waitcnt lgkmcnt(0)
	v_add_nc_u32_e32 v3, v50, v3
	s_cmp_gt_u32 s17, 23
	ds_bpermute_b32 v3, v24, v3
	s_waitcnt lgkmcnt(0)
	v_cndmask_b32_e64 v3, v3, v50, s12
	s_delay_alu instid0(VALU_DEP_1) | instskip(NEXT) | instid1(VALU_DEP_1)
	v_cndmask_b32_e64 v3, v3, 0, s13
	v_add_nc_u32_e32 v4, v3, v4
	s_delay_alu instid0(VALU_DEP_1) | instskip(NEXT) | instid1(VALU_DEP_1)
	v_add_nc_u32_e32 v5, v4, v5
	v_add_nc_u32_e32 v6, v5, v6
	s_delay_alu instid0(VALU_DEP_1) | instskip(NEXT) | instid1(VALU_DEP_1)
	v_add_nc_u32_e32 v50, v6, v7
	;; [unrolled: 3-line block ×3, first 2 shown]
	v_add_nc_u32_e32 v1, v0, v2
	ds_store_2addr_b64 v17, v[3:4], v[5:6] offset0:8 offset1:9
	ds_store_2addr_b64 v21, v[50:51], v[0:1] offset0:2 offset1:3
	s_waitcnt lgkmcnt(0)
	s_barrier
	buffer_gl0_inv
	ds_load_b32 v0, v40
	ds_load_b32 v1, v43
	;; [unrolled: 1-line block ×4, first 2 shown]
	s_waitcnt lgkmcnt(3)
	v_add_nc_u32_e32 v7, v0, v39
	s_waitcnt lgkmcnt(2)
	v_add3_u32 v6, v42, v41, v1
	s_waitcnt lgkmcnt(1)
	v_add3_u32 v5, v45, v44, v2
	;; [unrolled: 2-line block ×3, first 2 shown]
	s_cbranch_scc0 .LBB45_5
; %bb.21:                               ;   in Loop: Header=BB45_2 Depth=1
                                        ; implicit-def: $vgpr3
                                        ; implicit-def: $vgpr1
                                        ; implicit-def: $sgpr17
.LBB45_22:                              ;   in Loop: Header=BB45_2 Depth=1
	v_lshlrev_b32_e32 v0, 2, v7
	v_lshlrev_b32_e32 v1, 2, v6
	;; [unrolled: 1-line block ×4, first 2 shown]
	s_barrier
	buffer_gl0_inv
	ds_store_b32 v0, v8
	ds_store_b32 v1, v38
	;; [unrolled: 1-line block ×4, first 2 shown]
	s_waitcnt lgkmcnt(0)
	s_barrier
	buffer_gl0_inv
	ds_load_2addr_b64 v[5:8], v27 offset1:1
	s_waitcnt lgkmcnt(0)
	s_barrier
	buffer_gl0_inv
	s_and_saveexec_b32 s16, s0
	s_cbranch_execz .LBB45_24
; %bb.23:                               ;   in Loop: Header=BB45_2 Depth=1
	ds_store_2addr_stride64_b32 v30, v35, v35 offset0:16 offset1:24
.LBB45_24:                              ;   in Loop: Header=BB45_2 Depth=1
	s_or_b32 exec_lo, exec_lo, s16
	v_xor_b32_e32 v4, 0x80000000, v8
	v_xor_b32_e32 v3, 0x80000000, v7
	s_mov_b32 s16, exec_lo
	s_waitcnt lgkmcnt(0)
	s_barrier
	v_mov_b32_e32 v0, v4
	buffer_gl0_inv
	ds_store_b32 v23, v4
	v_cmpx_ne_u32_e64 v7, v8
	s_cbranch_execz .LBB45_26
; %bb.25:                               ;   in Loop: Header=BB45_2 Depth=1
	v_dual_mov_b32 v0, v3 :: v_dual_lshlrev_b32 v1, 2, v4
	v_lshlrev_b32_e32 v2, 2, v3
	ds_store_b32 v1, v33 offset:4096
	ds_store_b32 v2, v33 offset:6144
.LBB45_26:                              ;   in Loop: Header=BB45_2 Depth=1
	s_or_b32 exec_lo, exec_lo, s16
	v_xor_b32_e32 v2, 0x80000000, v6
	s_mov_b32 s16, exec_lo
	s_delay_alu instid0(VALU_DEP_1)
	v_lshlrev_b32_e32 v7, 2, v2
	v_cmpx_ne_u32_e64 v2, v0
	s_cbranch_execz .LBB45_28
; %bb.27:                               ;   in Loop: Header=BB45_2 Depth=1
	v_lshlrev_b32_e32 v0, 2, v0
	ds_store_b32 v0, v32 offset:4096
	ds_store_b32 v7, v32 offset:6144
.LBB45_28:                              ;   in Loop: Header=BB45_2 Depth=1
	s_or_b32 exec_lo, exec_lo, s16
	v_xor_b32_e32 v1, 0x80000000, v5
	s_mov_b32 s16, exec_lo
	s_delay_alu instid0(VALU_DEP_1)
	v_lshlrev_b32_e32 v0, 2, v1
	v_cmpx_ne_u32_e64 v5, v6
	s_cbranch_execz .LBB45_30
; %bb.29:                               ;   in Loop: Header=BB45_2 Depth=1
	ds_store_b32 v7, v31 offset:4096
	ds_store_b32 v0, v31 offset:6144
.LBB45_30:                              ;   in Loop: Header=BB45_2 Depth=1
	s_or_b32 exec_lo, exec_lo, s16
	s_waitcnt lgkmcnt(0)
	s_barrier
	buffer_gl0_inv
	s_and_saveexec_b32 s16, s14
	s_cbranch_execz .LBB45_33
; %bb.31:                               ;   in Loop: Header=BB45_2 Depth=1
	ds_load_b32 v5, v34
	s_waitcnt lgkmcnt(0)
	v_cmp_ne_u32_e32 vcc_lo, v5, v1
	s_and_b32 exec_lo, exec_lo, vcc_lo
	s_cbranch_execz .LBB45_33
; %bb.32:                               ;   in Loop: Header=BB45_2 Depth=1
	ds_store_b32 v0, v16 offset:4096
	ds_load_b32 v5, v34
	s_waitcnt lgkmcnt(0)
	v_lshlrev_b32_e32 v5, 2, v5
	ds_store_b32 v5, v16 offset:6144
.LBB45_33:                              ;   in Loop: Header=BB45_2 Depth=1
	s_or_b32 exec_lo, exec_lo, s16
	s_waitcnt lgkmcnt(0)
	s_barrier
	buffer_gl0_inv
	s_and_saveexec_b32 s16, s13
	s_cbranch_execz .LBB45_35
; %bb.34:                               ;   in Loop: Header=BB45_2 Depth=1
	ds_store_b32 v0, v11 offset:4096
.LBB45_35:                              ;   in Loop: Header=BB45_2 Depth=1
	s_or_b32 exec_lo, exec_lo, s16
	s_waitcnt lgkmcnt(0)
	s_barrier
	buffer_gl0_inv
	s_and_saveexec_b32 s16, s0
	s_cbranch_execz .LBB45_1
; %bb.36:                               ;   in Loop: Header=BB45_2 Depth=1
	ds_load_2addr_stride64_b32 v[5:6], v30 offset0:16 offset1:24
	ds_load_b32 v0, v26
	s_waitcnt lgkmcnt(1)
	v_sub_nc_u32_e32 v5, v6, v5
	s_waitcnt lgkmcnt(0)
	s_delay_alu instid0(VALU_DEP_1)
	v_add_nc_u32_e32 v0, v5, v0
	ds_store_b32 v26, v0
	s_branch .LBB45_1
.LBB45_37:
	s_and_saveexec_b32 s1, s0
	s_cbranch_execz .LBB45_39
; %bb.38:
	ds_load_b32 v2, v26
	v_lshl_or_b32 v0, s15, 9, v9
	v_mov_b32_e32 v1, 0
	s_delay_alu instid0(VALU_DEP_1) | instskip(NEXT) | instid1(VALU_DEP_1)
	v_lshlrev_b64 v[0:1], 2, v[0:1]
	v_add_co_u32 v0, vcc_lo, s18, v0
	s_delay_alu instid0(VALU_DEP_2)
	v_add_co_ci_u32_e32 v1, vcc_lo, s19, v1, vcc_lo
	s_waitcnt lgkmcnt(0)
	global_store_b32 v[0:1], v2, off
.LBB45_39:
	s_nop 0
	s_sendmsg sendmsg(MSG_DEALLOC_VGPRS)
	s_endpgm
	.section	.rodata,"a",@progbits
	.p2align	6, 0x0
	.amdhsa_kernel _Z6kernelI9histogramILN6hipcub23BlockHistogramAlgorithmE1EEiLj512ELj4ELj512ELj100EEvPKT0_PS4_
		.amdhsa_group_segment_fixed_size 18496
		.amdhsa_private_segment_fixed_size 0
		.amdhsa_kernarg_size 272
		.amdhsa_user_sgpr_count 15
		.amdhsa_user_sgpr_dispatch_ptr 0
		.amdhsa_user_sgpr_queue_ptr 0
		.amdhsa_user_sgpr_kernarg_segment_ptr 1
		.amdhsa_user_sgpr_dispatch_id 0
		.amdhsa_user_sgpr_private_segment_size 0
		.amdhsa_wavefront_size32 1
		.amdhsa_uses_dynamic_stack 0
		.amdhsa_enable_private_segment 0
		.amdhsa_system_sgpr_workgroup_id_x 1
		.amdhsa_system_sgpr_workgroup_id_y 0
		.amdhsa_system_sgpr_workgroup_id_z 0
		.amdhsa_system_sgpr_workgroup_info 0
		.amdhsa_system_vgpr_workitem_id 2
		.amdhsa_next_free_vgpr 52
		.amdhsa_next_free_sgpr 22
		.amdhsa_reserve_vcc 1
		.amdhsa_float_round_mode_32 0
		.amdhsa_float_round_mode_16_64 0
		.amdhsa_float_denorm_mode_32 3
		.amdhsa_float_denorm_mode_16_64 3
		.amdhsa_dx10_clamp 1
		.amdhsa_ieee_mode 1
		.amdhsa_fp16_overflow 0
		.amdhsa_workgroup_processor_mode 1
		.amdhsa_memory_ordered 1
		.amdhsa_forward_progress 0
		.amdhsa_shared_vgpr_count 0
		.amdhsa_exception_fp_ieee_invalid_op 0
		.amdhsa_exception_fp_denorm_src 0
		.amdhsa_exception_fp_ieee_div_zero 0
		.amdhsa_exception_fp_ieee_overflow 0
		.amdhsa_exception_fp_ieee_underflow 0
		.amdhsa_exception_fp_ieee_inexact 0
		.amdhsa_exception_int_div_zero 0
	.end_amdhsa_kernel
	.section	.text._Z6kernelI9histogramILN6hipcub23BlockHistogramAlgorithmE1EEiLj512ELj4ELj512ELj100EEvPKT0_PS4_,"axG",@progbits,_Z6kernelI9histogramILN6hipcub23BlockHistogramAlgorithmE1EEiLj512ELj4ELj512ELj100EEvPKT0_PS4_,comdat
.Lfunc_end45:
	.size	_Z6kernelI9histogramILN6hipcub23BlockHistogramAlgorithmE1EEiLj512ELj4ELj512ELj100EEvPKT0_PS4_, .Lfunc_end45-_Z6kernelI9histogramILN6hipcub23BlockHistogramAlgorithmE1EEiLj512ELj4ELj512ELj100EEvPKT0_PS4_
                                        ; -- End function
	.section	.AMDGPU.csdata,"",@progbits
; Kernel info:
; codeLenInByte = 3480
; NumSgprs: 24
; NumVgprs: 52
; ScratchSize: 0
; MemoryBound: 0
; FloatMode: 240
; IeeeMode: 1
; LDSByteSize: 18496 bytes/workgroup (compile time only)
; SGPRBlocks: 2
; VGPRBlocks: 6
; NumSGPRsForWavesPerEU: 24
; NumVGPRsForWavesPerEU: 52
; Occupancy: 16
; WaveLimiterHint : 0
; COMPUTE_PGM_RSRC2:SCRATCH_EN: 0
; COMPUTE_PGM_RSRC2:USER_SGPR: 15
; COMPUTE_PGM_RSRC2:TRAP_HANDLER: 0
; COMPUTE_PGM_RSRC2:TGID_X_EN: 1
; COMPUTE_PGM_RSRC2:TGID_Y_EN: 0
; COMPUTE_PGM_RSRC2:TGID_Z_EN: 0
; COMPUTE_PGM_RSRC2:TIDIG_COMP_CNT: 2
	.section	.text._Z6kernelI9histogramILN6hipcub23BlockHistogramAlgorithmE1EEiLj512ELj8ELj512ELj100EEvPKT0_PS4_,"axG",@progbits,_Z6kernelI9histogramILN6hipcub23BlockHistogramAlgorithmE1EEiLj512ELj8ELj512ELj100EEvPKT0_PS4_,comdat
	.protected	_Z6kernelI9histogramILN6hipcub23BlockHistogramAlgorithmE1EEiLj512ELj8ELj512ELj100EEvPKT0_PS4_ ; -- Begin function _Z6kernelI9histogramILN6hipcub23BlockHistogramAlgorithmE1EEiLj512ELj8ELj512ELj100EEvPKT0_PS4_
	.globl	_Z6kernelI9histogramILN6hipcub23BlockHistogramAlgorithmE1EEiLj512ELj8ELj512ELj100EEvPKT0_PS4_
	.p2align	8
	.type	_Z6kernelI9histogramILN6hipcub23BlockHistogramAlgorithmE1EEiLj512ELj8ELj512ELj100EEvPKT0_PS4_,@function
_Z6kernelI9histogramILN6hipcub23BlockHistogramAlgorithmE1EEiLj512ELj8ELj512ELj100EEvPKT0_PS4_: ; @_Z6kernelI9histogramILN6hipcub23BlockHistogramAlgorithmE1EEiLj512ELj8ELj512ELj100EEvPKT0_PS4_
; %bb.0:
	v_mbcnt_lo_u32_b32 v11, -1, 0
	v_and_b32_e32 v13, 0x3ff, v0
	s_clause 0x1
	s_load_b128 s[16:19], s[0:1], 0x0
	s_load_b32 s1, s[0:1], 0x1c
	v_bfe_u32 v10, v0, 10, 10
	v_dual_mov_b32 v15, 0 :: v_dual_lshlrev_b32 v20, 3, v13
	v_bfe_u32 v0, v0, 20, 10
	v_cmp_eq_u32_e64 s9, 0, v11
	v_mov_b32_e32 v40, 0x1000
	s_delay_alu instid0(VALU_DEP_4)
	v_lshl_or_b32 v14, s15, 12, v20
	v_and_or_b32 v16, 0xf00, v20, v11
	v_or_b32_e32 v23, 1, v20
	v_or_b32_e32 v25, 2, v20
	;; [unrolled: 1-line block ×3, first 2 shown]
	v_lshlrev_b64 v[1:2], 2, v[14:15]
	v_or_b32_e32 v27, 4, v20
	v_or_b32_e32 v28, 5, v20
	v_or_b32_e32 v29, 6, v20
	v_or_b32_e32 v30, 7, v20
	s_waitcnt lgkmcnt(0)
	v_add_co_u32 v1, vcc_lo, s16, v1
	v_add_co_ci_u32_e32 v2, vcc_lo, s17, v2, vcc_lo
	s_clause 0x1
	global_load_b128 v[5:8], v[1:2], off
	global_load_b128 v[1:4], v[1:2], off offset:16
	s_mov_b32 s16, 0
	s_lshr_b32 s2, s1, 16
	s_mov_b32 s17, s16
	v_and_b32_e32 v12, 0x1e0, v13
	v_dual_mov_b32 v16, s16 :: v_dual_lshlrev_b32 v21, 2, v16
	v_mov_b32_e32 v17, s17
	v_mad_u32_u24 v0, v0, s2, v10
	s_delay_alu instid0(VALU_DEP_4) | instskip(SKIP_3) | instid1(VALU_DEP_1)
	v_or_b32_e32 v9, v11, v12
	s_mov_b32 s12, s16
	s_mov_b32 s13, s16
	s_and_b32 s1, s1, 0xffff
	v_dual_mov_b32 v19, s13 :: v_dual_lshlrev_b32 v14, 5, v9
	v_mov_b32_e32 v18, s12
	s_delay_alu instid0(VALU_DEP_2) | instskip(SKIP_3) | instid1(VALU_DEP_2)
	v_mad_u64_u32 v[9:10], null, v0, s1, v[13:14]
	v_or_b32_e32 v10, 31, v12
	v_add_nc_u32_e32 v12, -1, v11
	v_and_b32_e32 v0, 15, v11
	v_cmp_gt_i32_e32 vcc_lo, 0, v12
	s_delay_alu instid0(VALU_DEP_2)
	v_cmp_eq_u32_e64 s1, 0, v0
	v_cmp_lt_u32_e64 s2, 1, v0
	v_cmp_lt_u32_e64 s3, 3, v0
	;; [unrolled: 1-line block ×3, first 2 shown]
	v_cndmask_b32_e32 v0, v12, v11, vcc_lo
	v_lshlrev_b32_e32 v22, 5, v13
	v_lshrrev_b32_e32 v31, 5, v9
	v_and_b32_e32 v9, 16, v11
	v_cmp_gt_u32_e64 s0, 0x200, v13
	v_cmp_eq_u32_e64 s6, v10, v13
	v_mad_i32_i24 v33, 0xffffffe4, v13, v22
	v_add_nc_u32_e32 v24, 64, v22
	v_cmp_eq_u32_e64 s5, 0, v9
	v_lshrrev_b32_e32 v9, 3, v13
	v_cmp_gt_u32_e64 s7, 16, v13
	v_mad_u32_u24 v34, v13, 28, v33
	v_cmp_lt_u32_e64 s8, 31, v13
	v_lshlrev_b32_e32 v35, 2, v0
	v_and_b32_e32 v36, 60, v9
	v_cmp_eq_u32_e64 s10, 0, v13
	v_mad_i32_i24 v37, 0xffffffe4, v13, v34
	v_cmp_ne_u32_e64 s11, 0, v13
	v_lshl_add_u32 v32, v13, 2, 0x4040
	v_add_nc_u32_e32 v38, -4, v36
	s_delay_alu instid0(VALU_DEP_4)
	v_add_nc_u32_e32 v39, -4, v37
	s_branch .LBB46_2
.LBB46_1:                               ;   in Loop: Header=BB46_2 Depth=1
	s_or_b32 exec_lo, exec_lo, s12
	s_add_i32 s16, s16, 1
	s_delay_alu instid0(SALU_CYCLE_1)
	s_cmpk_eq_i32 s16, 0x64
	s_cbranch_scc1 .LBB46_53
.LBB46_2:                               ; =>This Loop Header: Depth=1
                                        ;     Child Loop BB46_6 Depth 2
	s_and_saveexec_b32 s12, s0
	s_cbranch_execz .LBB46_4
; %bb.3:                                ;   in Loop: Header=BB46_2 Depth=1
	ds_store_b32 v32, v15
.LBB46_4:                               ;   in Loop: Header=BB46_2 Depth=1
	s_or_b32 exec_lo, exec_lo, s12
	s_waitcnt vmcnt(1)
	v_xor_b32_e32 v5, 0x80000000, v5
	v_xor_b32_e32 v6, 0x80000000, v6
	;; [unrolled: 1-line block ×4, first 2 shown]
	s_waitcnt vmcnt(0)
	v_xor_b32_e32 v0, 0x80000000, v1
	v_xor_b32_e32 v1, 0x80000000, v2
	;; [unrolled: 1-line block ×4, first 2 shown]
	s_waitcnt lgkmcnt(0)
	s_barrier
	buffer_gl0_inv
	ds_store_2addr_b64 v14, v[5:6], v[7:8] offset1:1
	ds_store_2addr_b64 v14, v[0:1], v[2:3] offset0:2 offset1:3
	; wave barrier
	ds_load_2addr_b32 v[0:1], v21 offset1:32
	ds_load_2addr_b32 v[2:3], v21 offset0:64 offset1:96
	ds_load_2addr_b32 v[4:5], v21 offset0:128 offset1:160
	;; [unrolled: 1-line block ×3, first 2 shown]
	s_mov_b32 s13, 0
	s_waitcnt lgkmcnt(0)
	s_barrier
	buffer_gl0_inv
	; wave barrier
	s_barrier
	s_branch .LBB46_6
.LBB46_5:                               ;   in Loop: Header=BB46_6 Depth=2
	v_lshlrev_b32_e32 v0, 2, v54
	v_lshlrev_b32_e32 v1, 2, v51
	;; [unrolled: 1-line block ×3, first 2 shown]
	s_barrier
	buffer_gl0_inv
	ds_store_b32 v0, v8
	ds_store_b32 v1, v43
	;; [unrolled: 1-line block ×3, first 2 shown]
	v_lshlrev_b32_e32 v0, 2, v48
	v_lshlrev_b32_e32 v1, 2, v47
	;; [unrolled: 1-line block ×5, first 2 shown]
	ds_store_b32 v0, v41
	ds_store_b32 v1, v12
	;; [unrolled: 1-line block ×5, first 2 shown]
	s_waitcnt lgkmcnt(0)
	s_barrier
	buffer_gl0_inv
	ds_load_2addr_b32 v[0:1], v21 offset1:32
	ds_load_2addr_b32 v[2:3], v21 offset0:64 offset1:96
	ds_load_2addr_b32 v[4:5], v21 offset0:128 offset1:160
	;; [unrolled: 1-line block ×3, first 2 shown]
	s_add_i32 s13, s13, 8
	s_waitcnt lgkmcnt(0)
	s_barrier
	s_cbranch_execz .LBB46_30
.LBB46_6:                               ;   Parent Loop BB46_2 Depth=1
                                        ; =>  This Inner Loop Header: Depth=2
	v_mov_b32_e32 v8, v0
	buffer_gl0_inv
	ds_store_2addr_b64 v22, v[16:17], v[18:19] offset0:8 offset1:9
	ds_store_2addr_b64 v24, v[16:17], v[18:19] offset0:2 offset1:3
	s_waitcnt lgkmcnt(0)
	s_barrier
	v_lshrrev_b32_e32 v9, s13, v8
	buffer_gl0_inv
	; wave barrier
	v_lshlrev_b32_e32 v11, 30, v9
	v_bfe_u32 v0, v8, s13, 1
	v_lshlrev_b32_e32 v12, 29, v9
	v_lshlrev_b32_e32 v41, 28, v9
	;; [unrolled: 1-line block ×4, first 2 shown]
	v_add_co_u32 v0, s12, v0, -1
	s_delay_alu instid0(VALU_DEP_1) | instskip(SKIP_3) | instid1(VALU_DEP_4)
	v_cndmask_b32_e64 v10, 0, 1, s12
	v_cmp_gt_i32_e64 s12, 0, v11
	v_lshlrev_b32_e32 v44, 25, v9
	v_lshlrev_b32_e32 v9, 24, v9
	v_cmp_ne_u32_e32 vcc_lo, 0, v10
	v_not_b32_e32 v10, v11
	v_not_b32_e32 v11, v12
	v_xor_b32_e32 v0, vcc_lo, v0
	s_delay_alu instid0(VALU_DEP_3)
	v_ashrrev_i32_e32 v10, 31, v10
	v_cmp_gt_i32_e32 vcc_lo, 0, v12
	v_not_b32_e32 v12, v41
	v_ashrrev_i32_e32 v11, 31, v11
	v_and_b32_e32 v0, exec_lo, v0
	v_xor_b32_e32 v10, s12, v10
	v_cmp_gt_i32_e64 s12, 0, v41
	v_not_b32_e32 v41, v42
	v_ashrrev_i32_e32 v12, 31, v12
	v_xor_b32_e32 v11, vcc_lo, v11
	v_and_b32_e32 v0, v0, v10
	v_cmp_gt_i32_e32 vcc_lo, 0, v42
	v_ashrrev_i32_e32 v41, 31, v41
	v_xor_b32_e32 v12, s12, v12
	v_not_b32_e32 v10, v43
	v_and_b32_e32 v0, v0, v11
	v_cmp_gt_i32_e64 s12, 0, v43
	v_mov_b32_e32 v43, v1
	v_xor_b32_e32 v41, vcc_lo, v41
	v_ashrrev_i32_e32 v10, 31, v10
	v_and_b32_e32 v0, v0, v12
	v_mov_b32_e32 v42, v2
	v_not_b32_e32 v12, v9
	v_bfe_u32 v1, v8, s13, 8
	v_xor_b32_e32 v10, s12, v10
	v_dual_mov_b32 v41, v3 :: v_dual_and_b32 v0, v0, v41
	v_not_b32_e32 v11, v44
	v_cmp_gt_i32_e32 vcc_lo, 0, v44
	v_cmp_gt_i32_e64 s12, 0, v9
	v_ashrrev_i32_e32 v12, 31, v12
	v_and_b32_e32 v0, v0, v10
	v_ashrrev_i32_e32 v11, 31, v11
	v_mov_b32_e32 v9, v7
	v_lshl_add_u32 v1, v1, 4, v31
	v_xor_b32_e32 v7, s12, v12
	v_mov_b32_e32 v10, v6
	v_xor_b32_e32 v11, vcc_lo, v11
	v_mov_b32_e32 v12, v4
	v_lshl_add_u32 v45, v1, 2, 64
	s_delay_alu instid0(VALU_DEP_3) | instskip(NEXT) | instid1(VALU_DEP_1)
	v_dual_mov_b32 v11, v5 :: v_dual_and_b32 v0, v0, v11
	v_and_b32_e32 v0, v0, v7
	s_delay_alu instid0(VALU_DEP_1) | instskip(SKIP_1) | instid1(VALU_DEP_2)
	v_mbcnt_lo_u32_b32 v44, v0, 0
	v_cmp_ne_u32_e64 s12, 0, v0
	v_cmp_eq_u32_e32 vcc_lo, 0, v44
	s_delay_alu instid0(VALU_DEP_2) | instskip(NEXT) | instid1(SALU_CYCLE_1)
	s_and_b32 s14, s12, vcc_lo
	s_and_saveexec_b32 s12, s14
	s_cbranch_execz .LBB46_8
; %bb.7:                                ;   in Loop: Header=BB46_6 Depth=2
	v_bcnt_u32_b32 v0, v0, 0
	ds_store_b32 v45, v0
.LBB46_8:                               ;   in Loop: Header=BB46_6 Depth=2
	s_or_b32 exec_lo, exec_lo, s12
	v_bfe_u32 v0, v43, s13, 1
	v_lshrrev_b32_e32 v1, s13, v43
	; wave barrier
	s_delay_alu instid0(VALU_DEP_2) | instskip(NEXT) | instid1(VALU_DEP_1)
	v_add_co_u32 v0, s12, v0, -1
	v_cndmask_b32_e64 v2, 0, 1, s12
	s_delay_alu instid0(VALU_DEP_3)
	v_lshlrev_b32_e32 v3, 30, v1
	v_lshlrev_b32_e32 v4, 29, v1
	v_lshlrev_b32_e32 v5, 28, v1
	v_lshlrev_b32_e32 v6, 27, v1
	v_cmp_ne_u32_e32 vcc_lo, 0, v2
	v_not_b32_e32 v2, v3
	v_cmp_gt_i32_e64 s12, 0, v3
	v_not_b32_e32 v3, v4
	v_lshlrev_b32_e32 v7, 26, v1
	v_xor_b32_e32 v0, vcc_lo, v0
	v_ashrrev_i32_e32 v2, 31, v2
	v_cmp_gt_i32_e32 vcc_lo, 0, v4
	v_not_b32_e32 v4, v5
	v_ashrrev_i32_e32 v3, 31, v3
	v_and_b32_e32 v0, exec_lo, v0
	v_xor_b32_e32 v2, s12, v2
	v_cmp_gt_i32_e64 s12, 0, v5
	v_not_b32_e32 v5, v6
	v_ashrrev_i32_e32 v4, 31, v4
	v_xor_b32_e32 v3, vcc_lo, v3
	v_and_b32_e32 v0, v0, v2
	v_cmp_gt_i32_e32 vcc_lo, 0, v6
	v_not_b32_e32 v2, v7
	v_ashrrev_i32_e32 v5, 31, v5
	v_xor_b32_e32 v4, s12, v4
	v_and_b32_e32 v0, v0, v3
	v_lshlrev_b32_e32 v3, 25, v1
	v_cmp_gt_i32_e64 s12, 0, v7
	v_ashrrev_i32_e32 v2, 31, v2
	v_xor_b32_e32 v5, vcc_lo, v5
	v_and_b32_e32 v0, v0, v4
	v_not_b32_e32 v6, v3
	v_lshlrev_b32_e32 v1, 24, v1
	v_bfe_u32 v4, v43, s13, 8
	v_xor_b32_e32 v2, s12, v2
	v_and_b32_e32 v0, v0, v5
	v_cmp_gt_i32_e32 vcc_lo, 0, v3
	v_ashrrev_i32_e32 v3, 31, v6
	v_not_b32_e32 v5, v1
	v_lshlrev_b32_e32 v4, 4, v4
	v_and_b32_e32 v0, v0, v2
	s_delay_alu instid0(VALU_DEP_4) | instskip(SKIP_3) | instid1(VALU_DEP_4)
	v_xor_b32_e32 v2, vcc_lo, v3
	v_cmp_gt_i32_e32 vcc_lo, 0, v1
	v_ashrrev_i32_e32 v1, 31, v5
	v_add_lshl_u32 v3, v4, v31, 2
	v_and_b32_e32 v0, v0, v2
	s_delay_alu instid0(VALU_DEP_3) | instskip(SKIP_3) | instid1(VALU_DEP_1)
	v_xor_b32_e32 v1, vcc_lo, v1
	ds_load_b32 v46, v3 offset:64
	v_add_nc_u32_e32 v48, 64, v3
	; wave barrier
	v_and_b32_e32 v0, v0, v1
	v_mbcnt_lo_u32_b32 v47, v0, 0
	v_cmp_ne_u32_e64 s12, 0, v0
	s_delay_alu instid0(VALU_DEP_2) | instskip(NEXT) | instid1(VALU_DEP_2)
	v_cmp_eq_u32_e32 vcc_lo, 0, v47
	s_and_b32 s14, s12, vcc_lo
	s_delay_alu instid0(SALU_CYCLE_1)
	s_and_saveexec_b32 s12, s14
	s_cbranch_execz .LBB46_10
; %bb.9:                                ;   in Loop: Header=BB46_6 Depth=2
	s_waitcnt lgkmcnt(0)
	v_bcnt_u32_b32 v0, v0, v46
	ds_store_b32 v48, v0
.LBB46_10:                              ;   in Loop: Header=BB46_6 Depth=2
	s_or_b32 exec_lo, exec_lo, s12
	v_bfe_u32 v0, v42, s13, 1
	v_lshrrev_b32_e32 v1, s13, v42
	; wave barrier
	s_delay_alu instid0(VALU_DEP_2) | instskip(NEXT) | instid1(VALU_DEP_1)
	v_add_co_u32 v0, s12, v0, -1
	v_cndmask_b32_e64 v2, 0, 1, s12
	s_delay_alu instid0(VALU_DEP_3)
	v_lshlrev_b32_e32 v3, 30, v1
	v_lshlrev_b32_e32 v4, 29, v1
	;; [unrolled: 1-line block ×4, first 2 shown]
	v_cmp_ne_u32_e32 vcc_lo, 0, v2
	v_not_b32_e32 v2, v3
	v_cmp_gt_i32_e64 s12, 0, v3
	v_not_b32_e32 v3, v4
	v_lshlrev_b32_e32 v7, 26, v1
	v_xor_b32_e32 v0, vcc_lo, v0
	v_ashrrev_i32_e32 v2, 31, v2
	v_cmp_gt_i32_e32 vcc_lo, 0, v4
	v_not_b32_e32 v4, v5
	v_ashrrev_i32_e32 v3, 31, v3
	v_and_b32_e32 v0, exec_lo, v0
	v_xor_b32_e32 v2, s12, v2
	v_cmp_gt_i32_e64 s12, 0, v5
	v_not_b32_e32 v5, v6
	v_ashrrev_i32_e32 v4, 31, v4
	v_xor_b32_e32 v3, vcc_lo, v3
	v_and_b32_e32 v0, v0, v2
	v_cmp_gt_i32_e32 vcc_lo, 0, v6
	v_not_b32_e32 v2, v7
	v_ashrrev_i32_e32 v5, 31, v5
	v_xor_b32_e32 v4, s12, v4
	v_and_b32_e32 v0, v0, v3
	v_lshlrev_b32_e32 v3, 25, v1
	v_cmp_gt_i32_e64 s12, 0, v7
	v_ashrrev_i32_e32 v2, 31, v2
	v_xor_b32_e32 v5, vcc_lo, v5
	v_and_b32_e32 v0, v0, v4
	v_not_b32_e32 v6, v3
	v_lshlrev_b32_e32 v1, 24, v1
	v_bfe_u32 v4, v42, s13, 8
	v_xor_b32_e32 v2, s12, v2
	v_and_b32_e32 v0, v0, v5
	v_cmp_gt_i32_e32 vcc_lo, 0, v3
	v_ashrrev_i32_e32 v3, 31, v6
	v_not_b32_e32 v5, v1
	v_lshlrev_b32_e32 v4, 4, v4
	v_and_b32_e32 v0, v0, v2
	s_delay_alu instid0(VALU_DEP_4) | instskip(SKIP_3) | instid1(VALU_DEP_4)
	v_xor_b32_e32 v2, vcc_lo, v3
	v_cmp_gt_i32_e32 vcc_lo, 0, v1
	v_ashrrev_i32_e32 v1, 31, v5
	v_add_lshl_u32 v3, v4, v31, 2
	v_and_b32_e32 v0, v0, v2
	s_delay_alu instid0(VALU_DEP_3) | instskip(SKIP_3) | instid1(VALU_DEP_1)
	v_xor_b32_e32 v1, vcc_lo, v1
	ds_load_b32 v49, v3 offset:64
	v_add_nc_u32_e32 v51, 64, v3
	; wave barrier
	v_and_b32_e32 v0, v0, v1
	v_mbcnt_lo_u32_b32 v50, v0, 0
	v_cmp_ne_u32_e64 s12, 0, v0
	s_delay_alu instid0(VALU_DEP_2) | instskip(NEXT) | instid1(VALU_DEP_2)
	v_cmp_eq_u32_e32 vcc_lo, 0, v50
	s_and_b32 s14, s12, vcc_lo
	s_delay_alu instid0(SALU_CYCLE_1)
	s_and_saveexec_b32 s12, s14
	s_cbranch_execz .LBB46_12
; %bb.11:                               ;   in Loop: Header=BB46_6 Depth=2
	s_waitcnt lgkmcnt(0)
	v_bcnt_u32_b32 v0, v0, v49
	ds_store_b32 v51, v0
.LBB46_12:                              ;   in Loop: Header=BB46_6 Depth=2
	s_or_b32 exec_lo, exec_lo, s12
	v_bfe_u32 v0, v41, s13, 1
	v_lshrrev_b32_e32 v1, s13, v41
	; wave barrier
	s_delay_alu instid0(VALU_DEP_2) | instskip(NEXT) | instid1(VALU_DEP_1)
	v_add_co_u32 v0, s12, v0, -1
	v_cndmask_b32_e64 v2, 0, 1, s12
	s_delay_alu instid0(VALU_DEP_3)
	v_lshlrev_b32_e32 v3, 30, v1
	v_lshlrev_b32_e32 v4, 29, v1
	;; [unrolled: 1-line block ×4, first 2 shown]
	v_cmp_ne_u32_e32 vcc_lo, 0, v2
	v_not_b32_e32 v2, v3
	v_cmp_gt_i32_e64 s12, 0, v3
	v_not_b32_e32 v3, v4
	v_lshlrev_b32_e32 v7, 26, v1
	v_xor_b32_e32 v0, vcc_lo, v0
	v_ashrrev_i32_e32 v2, 31, v2
	v_cmp_gt_i32_e32 vcc_lo, 0, v4
	v_not_b32_e32 v4, v5
	v_ashrrev_i32_e32 v3, 31, v3
	v_and_b32_e32 v0, exec_lo, v0
	v_xor_b32_e32 v2, s12, v2
	v_cmp_gt_i32_e64 s12, 0, v5
	v_not_b32_e32 v5, v6
	v_ashrrev_i32_e32 v4, 31, v4
	v_xor_b32_e32 v3, vcc_lo, v3
	v_and_b32_e32 v0, v0, v2
	v_cmp_gt_i32_e32 vcc_lo, 0, v6
	v_not_b32_e32 v2, v7
	v_ashrrev_i32_e32 v5, 31, v5
	v_xor_b32_e32 v4, s12, v4
	v_and_b32_e32 v0, v0, v3
	v_lshlrev_b32_e32 v3, 25, v1
	v_cmp_gt_i32_e64 s12, 0, v7
	v_ashrrev_i32_e32 v2, 31, v2
	v_xor_b32_e32 v5, vcc_lo, v5
	v_and_b32_e32 v0, v0, v4
	v_not_b32_e32 v6, v3
	v_lshlrev_b32_e32 v1, 24, v1
	v_bfe_u32 v4, v41, s13, 8
	v_xor_b32_e32 v2, s12, v2
	v_and_b32_e32 v0, v0, v5
	v_cmp_gt_i32_e32 vcc_lo, 0, v3
	v_ashrrev_i32_e32 v3, 31, v6
	v_not_b32_e32 v5, v1
	v_lshlrev_b32_e32 v4, 4, v4
	v_and_b32_e32 v0, v0, v2
	s_delay_alu instid0(VALU_DEP_4) | instskip(SKIP_3) | instid1(VALU_DEP_4)
	v_xor_b32_e32 v2, vcc_lo, v3
	v_cmp_gt_i32_e32 vcc_lo, 0, v1
	v_ashrrev_i32_e32 v1, 31, v5
	v_add_lshl_u32 v3, v4, v31, 2
	v_and_b32_e32 v0, v0, v2
	s_delay_alu instid0(VALU_DEP_3) | instskip(SKIP_3) | instid1(VALU_DEP_1)
	v_xor_b32_e32 v1, vcc_lo, v1
	ds_load_b32 v52, v3 offset:64
	v_add_nc_u32_e32 v54, 64, v3
	; wave barrier
	v_and_b32_e32 v0, v0, v1
	v_mbcnt_lo_u32_b32 v53, v0, 0
	v_cmp_ne_u32_e64 s12, 0, v0
	s_delay_alu instid0(VALU_DEP_2) | instskip(NEXT) | instid1(VALU_DEP_2)
	v_cmp_eq_u32_e32 vcc_lo, 0, v53
	s_and_b32 s14, s12, vcc_lo
	s_delay_alu instid0(SALU_CYCLE_1)
	s_and_saveexec_b32 s12, s14
	s_cbranch_execz .LBB46_14
; %bb.13:                               ;   in Loop: Header=BB46_6 Depth=2
	s_waitcnt lgkmcnt(0)
	v_bcnt_u32_b32 v0, v0, v52
	ds_store_b32 v54, v0
.LBB46_14:                              ;   in Loop: Header=BB46_6 Depth=2
	s_or_b32 exec_lo, exec_lo, s12
	v_bfe_u32 v0, v12, s13, 1
	v_lshrrev_b32_e32 v1, s13, v12
	; wave barrier
	s_delay_alu instid0(VALU_DEP_2) | instskip(NEXT) | instid1(VALU_DEP_1)
	v_add_co_u32 v0, s12, v0, -1
	v_cndmask_b32_e64 v2, 0, 1, s12
	s_delay_alu instid0(VALU_DEP_3)
	v_lshlrev_b32_e32 v3, 30, v1
	v_lshlrev_b32_e32 v4, 29, v1
	;; [unrolled: 1-line block ×4, first 2 shown]
	v_cmp_ne_u32_e32 vcc_lo, 0, v2
	v_not_b32_e32 v2, v3
	v_cmp_gt_i32_e64 s12, 0, v3
	v_not_b32_e32 v3, v4
	v_lshlrev_b32_e32 v7, 26, v1
	v_xor_b32_e32 v0, vcc_lo, v0
	v_ashrrev_i32_e32 v2, 31, v2
	v_cmp_gt_i32_e32 vcc_lo, 0, v4
	v_not_b32_e32 v4, v5
	v_ashrrev_i32_e32 v3, 31, v3
	v_and_b32_e32 v0, exec_lo, v0
	v_xor_b32_e32 v2, s12, v2
	v_cmp_gt_i32_e64 s12, 0, v5
	v_not_b32_e32 v5, v6
	v_ashrrev_i32_e32 v4, 31, v4
	v_xor_b32_e32 v3, vcc_lo, v3
	v_and_b32_e32 v0, v0, v2
	v_cmp_gt_i32_e32 vcc_lo, 0, v6
	v_not_b32_e32 v2, v7
	v_ashrrev_i32_e32 v5, 31, v5
	v_xor_b32_e32 v4, s12, v4
	v_and_b32_e32 v0, v0, v3
	v_lshlrev_b32_e32 v3, 25, v1
	v_cmp_gt_i32_e64 s12, 0, v7
	v_ashrrev_i32_e32 v2, 31, v2
	v_xor_b32_e32 v5, vcc_lo, v5
	v_and_b32_e32 v0, v0, v4
	v_not_b32_e32 v6, v3
	v_lshlrev_b32_e32 v1, 24, v1
	v_bfe_u32 v4, v12, s13, 8
	v_xor_b32_e32 v2, s12, v2
	v_and_b32_e32 v0, v0, v5
	v_cmp_gt_i32_e32 vcc_lo, 0, v3
	v_ashrrev_i32_e32 v3, 31, v6
	v_not_b32_e32 v5, v1
	v_lshlrev_b32_e32 v4, 4, v4
	v_and_b32_e32 v0, v0, v2
	s_delay_alu instid0(VALU_DEP_4) | instskip(SKIP_3) | instid1(VALU_DEP_4)
	v_xor_b32_e32 v2, vcc_lo, v3
	v_cmp_gt_i32_e32 vcc_lo, 0, v1
	v_ashrrev_i32_e32 v1, 31, v5
	v_add_lshl_u32 v3, v4, v31, 2
	v_and_b32_e32 v0, v0, v2
	s_delay_alu instid0(VALU_DEP_3) | instskip(SKIP_3) | instid1(VALU_DEP_1)
	v_xor_b32_e32 v1, vcc_lo, v1
	ds_load_b32 v55, v3 offset:64
	v_add_nc_u32_e32 v57, 64, v3
	; wave barrier
	v_and_b32_e32 v0, v0, v1
	v_mbcnt_lo_u32_b32 v56, v0, 0
	v_cmp_ne_u32_e64 s12, 0, v0
	s_delay_alu instid0(VALU_DEP_2) | instskip(NEXT) | instid1(VALU_DEP_2)
	v_cmp_eq_u32_e32 vcc_lo, 0, v56
	s_and_b32 s14, s12, vcc_lo
	s_delay_alu instid0(SALU_CYCLE_1)
	s_and_saveexec_b32 s12, s14
	s_cbranch_execz .LBB46_16
; %bb.15:                               ;   in Loop: Header=BB46_6 Depth=2
	s_waitcnt lgkmcnt(0)
	v_bcnt_u32_b32 v0, v0, v55
	ds_store_b32 v57, v0
.LBB46_16:                              ;   in Loop: Header=BB46_6 Depth=2
	s_or_b32 exec_lo, exec_lo, s12
	v_bfe_u32 v0, v11, s13, 1
	v_lshrrev_b32_e32 v1, s13, v11
	; wave barrier
	s_delay_alu instid0(VALU_DEP_2) | instskip(NEXT) | instid1(VALU_DEP_1)
	v_add_co_u32 v0, s12, v0, -1
	v_cndmask_b32_e64 v2, 0, 1, s12
	s_delay_alu instid0(VALU_DEP_3)
	v_lshlrev_b32_e32 v3, 30, v1
	v_lshlrev_b32_e32 v4, 29, v1
	;; [unrolled: 1-line block ×4, first 2 shown]
	v_cmp_ne_u32_e32 vcc_lo, 0, v2
	v_not_b32_e32 v2, v3
	v_cmp_gt_i32_e64 s12, 0, v3
	v_not_b32_e32 v3, v4
	v_lshlrev_b32_e32 v7, 26, v1
	v_xor_b32_e32 v0, vcc_lo, v0
	v_ashrrev_i32_e32 v2, 31, v2
	v_cmp_gt_i32_e32 vcc_lo, 0, v4
	v_not_b32_e32 v4, v5
	v_ashrrev_i32_e32 v3, 31, v3
	v_and_b32_e32 v0, exec_lo, v0
	v_xor_b32_e32 v2, s12, v2
	v_cmp_gt_i32_e64 s12, 0, v5
	v_not_b32_e32 v5, v6
	v_ashrrev_i32_e32 v4, 31, v4
	v_xor_b32_e32 v3, vcc_lo, v3
	v_and_b32_e32 v0, v0, v2
	v_cmp_gt_i32_e32 vcc_lo, 0, v6
	v_not_b32_e32 v2, v7
	v_ashrrev_i32_e32 v5, 31, v5
	v_xor_b32_e32 v4, s12, v4
	v_and_b32_e32 v0, v0, v3
	v_lshlrev_b32_e32 v3, 25, v1
	v_cmp_gt_i32_e64 s12, 0, v7
	v_ashrrev_i32_e32 v2, 31, v2
	v_xor_b32_e32 v5, vcc_lo, v5
	v_and_b32_e32 v0, v0, v4
	v_not_b32_e32 v6, v3
	v_lshlrev_b32_e32 v1, 24, v1
	v_bfe_u32 v4, v11, s13, 8
	v_xor_b32_e32 v2, s12, v2
	v_and_b32_e32 v0, v0, v5
	v_cmp_gt_i32_e32 vcc_lo, 0, v3
	v_ashrrev_i32_e32 v3, 31, v6
	v_not_b32_e32 v5, v1
	v_lshlrev_b32_e32 v4, 4, v4
	v_and_b32_e32 v0, v0, v2
	s_delay_alu instid0(VALU_DEP_4) | instskip(SKIP_3) | instid1(VALU_DEP_4)
	v_xor_b32_e32 v2, vcc_lo, v3
	v_cmp_gt_i32_e32 vcc_lo, 0, v1
	v_ashrrev_i32_e32 v1, 31, v5
	v_add_lshl_u32 v3, v4, v31, 2
	v_and_b32_e32 v0, v0, v2
	s_delay_alu instid0(VALU_DEP_3) | instskip(SKIP_3) | instid1(VALU_DEP_1)
	v_xor_b32_e32 v1, vcc_lo, v1
	ds_load_b32 v58, v3 offset:64
	v_add_nc_u32_e32 v60, 64, v3
	; wave barrier
	v_and_b32_e32 v0, v0, v1
	v_mbcnt_lo_u32_b32 v59, v0, 0
	v_cmp_ne_u32_e64 s12, 0, v0
	s_delay_alu instid0(VALU_DEP_2) | instskip(NEXT) | instid1(VALU_DEP_2)
	v_cmp_eq_u32_e32 vcc_lo, 0, v59
	s_and_b32 s14, s12, vcc_lo
	s_delay_alu instid0(SALU_CYCLE_1)
	s_and_saveexec_b32 s12, s14
	s_cbranch_execz .LBB46_18
; %bb.17:                               ;   in Loop: Header=BB46_6 Depth=2
	s_waitcnt lgkmcnt(0)
	v_bcnt_u32_b32 v0, v0, v58
	ds_store_b32 v60, v0
.LBB46_18:                              ;   in Loop: Header=BB46_6 Depth=2
	s_or_b32 exec_lo, exec_lo, s12
	v_bfe_u32 v0, v10, s13, 1
	v_lshrrev_b32_e32 v1, s13, v10
	; wave barrier
	s_delay_alu instid0(VALU_DEP_2) | instskip(NEXT) | instid1(VALU_DEP_1)
	v_add_co_u32 v0, s12, v0, -1
	v_cndmask_b32_e64 v2, 0, 1, s12
	s_delay_alu instid0(VALU_DEP_3)
	v_lshlrev_b32_e32 v3, 30, v1
	v_lshlrev_b32_e32 v4, 29, v1
	v_lshlrev_b32_e32 v5, 28, v1
	v_lshlrev_b32_e32 v6, 27, v1
	v_cmp_ne_u32_e32 vcc_lo, 0, v2
	v_not_b32_e32 v2, v3
	v_cmp_gt_i32_e64 s12, 0, v3
	v_not_b32_e32 v3, v4
	v_lshlrev_b32_e32 v7, 26, v1
	v_xor_b32_e32 v0, vcc_lo, v0
	v_ashrrev_i32_e32 v2, 31, v2
	v_cmp_gt_i32_e32 vcc_lo, 0, v4
	v_not_b32_e32 v4, v5
	v_ashrrev_i32_e32 v3, 31, v3
	v_and_b32_e32 v0, exec_lo, v0
	v_xor_b32_e32 v2, s12, v2
	v_cmp_gt_i32_e64 s12, 0, v5
	v_not_b32_e32 v5, v6
	v_ashrrev_i32_e32 v4, 31, v4
	v_xor_b32_e32 v3, vcc_lo, v3
	v_and_b32_e32 v0, v0, v2
	v_cmp_gt_i32_e32 vcc_lo, 0, v6
	v_not_b32_e32 v2, v7
	v_ashrrev_i32_e32 v5, 31, v5
	v_xor_b32_e32 v4, s12, v4
	v_and_b32_e32 v0, v0, v3
	v_lshlrev_b32_e32 v3, 25, v1
	v_cmp_gt_i32_e64 s12, 0, v7
	v_ashrrev_i32_e32 v2, 31, v2
	v_xor_b32_e32 v5, vcc_lo, v5
	v_and_b32_e32 v0, v0, v4
	v_not_b32_e32 v6, v3
	v_lshlrev_b32_e32 v1, 24, v1
	v_bfe_u32 v4, v10, s13, 8
	v_xor_b32_e32 v2, s12, v2
	v_and_b32_e32 v0, v0, v5
	v_cmp_gt_i32_e32 vcc_lo, 0, v3
	v_ashrrev_i32_e32 v3, 31, v6
	v_not_b32_e32 v5, v1
	v_lshlrev_b32_e32 v4, 4, v4
	v_and_b32_e32 v0, v0, v2
	s_delay_alu instid0(VALU_DEP_4) | instskip(SKIP_3) | instid1(VALU_DEP_4)
	v_xor_b32_e32 v2, vcc_lo, v3
	v_cmp_gt_i32_e32 vcc_lo, 0, v1
	v_ashrrev_i32_e32 v1, 31, v5
	v_add_lshl_u32 v3, v4, v31, 2
	v_and_b32_e32 v0, v0, v2
	s_delay_alu instid0(VALU_DEP_3) | instskip(SKIP_3) | instid1(VALU_DEP_1)
	v_xor_b32_e32 v1, vcc_lo, v1
	ds_load_b32 v61, v3 offset:64
	v_add_nc_u32_e32 v63, 64, v3
	; wave barrier
	v_and_b32_e32 v0, v0, v1
	v_mbcnt_lo_u32_b32 v62, v0, 0
	v_cmp_ne_u32_e64 s12, 0, v0
	s_delay_alu instid0(VALU_DEP_2) | instskip(NEXT) | instid1(VALU_DEP_2)
	v_cmp_eq_u32_e32 vcc_lo, 0, v62
	s_and_b32 s14, s12, vcc_lo
	s_delay_alu instid0(SALU_CYCLE_1)
	s_and_saveexec_b32 s12, s14
	s_cbranch_execz .LBB46_20
; %bb.19:                               ;   in Loop: Header=BB46_6 Depth=2
	s_waitcnt lgkmcnt(0)
	v_bcnt_u32_b32 v0, v0, v61
	ds_store_b32 v63, v0
.LBB46_20:                              ;   in Loop: Header=BB46_6 Depth=2
	s_or_b32 exec_lo, exec_lo, s12
	v_bfe_u32 v0, v9, s13, 1
	v_lshrrev_b32_e32 v1, s13, v9
	; wave barrier
	s_delay_alu instid0(VALU_DEP_2) | instskip(NEXT) | instid1(VALU_DEP_1)
	v_add_co_u32 v0, s12, v0, -1
	v_cndmask_b32_e64 v2, 0, 1, s12
	s_delay_alu instid0(VALU_DEP_3)
	v_lshlrev_b32_e32 v3, 30, v1
	v_lshlrev_b32_e32 v4, 29, v1
	;; [unrolled: 1-line block ×4, first 2 shown]
	v_cmp_ne_u32_e32 vcc_lo, 0, v2
	v_not_b32_e32 v2, v3
	v_cmp_gt_i32_e64 s12, 0, v3
	v_not_b32_e32 v3, v4
	v_lshlrev_b32_e32 v7, 26, v1
	v_xor_b32_e32 v0, vcc_lo, v0
	v_ashrrev_i32_e32 v2, 31, v2
	v_cmp_gt_i32_e32 vcc_lo, 0, v4
	v_not_b32_e32 v4, v5
	v_ashrrev_i32_e32 v3, 31, v3
	v_and_b32_e32 v0, exec_lo, v0
	v_xor_b32_e32 v2, s12, v2
	v_cmp_gt_i32_e64 s12, 0, v5
	v_not_b32_e32 v5, v6
	v_ashrrev_i32_e32 v4, 31, v4
	v_xor_b32_e32 v3, vcc_lo, v3
	v_and_b32_e32 v0, v0, v2
	v_cmp_gt_i32_e32 vcc_lo, 0, v6
	v_not_b32_e32 v2, v7
	v_ashrrev_i32_e32 v5, 31, v5
	v_xor_b32_e32 v4, s12, v4
	v_and_b32_e32 v0, v0, v3
	v_lshlrev_b32_e32 v3, 25, v1
	v_cmp_gt_i32_e64 s12, 0, v7
	v_ashrrev_i32_e32 v2, 31, v2
	v_xor_b32_e32 v5, vcc_lo, v5
	v_and_b32_e32 v0, v0, v4
	v_not_b32_e32 v6, v3
	v_lshlrev_b32_e32 v1, 24, v1
	v_bfe_u32 v4, v9, s13, 8
	v_xor_b32_e32 v2, s12, v2
	v_and_b32_e32 v0, v0, v5
	v_cmp_gt_i32_e32 vcc_lo, 0, v3
	v_ashrrev_i32_e32 v3, 31, v6
	v_not_b32_e32 v5, v1
	v_lshlrev_b32_e32 v4, 4, v4
	v_and_b32_e32 v0, v0, v2
	s_delay_alu instid0(VALU_DEP_4) | instskip(SKIP_3) | instid1(VALU_DEP_4)
	v_xor_b32_e32 v2, vcc_lo, v3
	v_cmp_gt_i32_e32 vcc_lo, 0, v1
	v_ashrrev_i32_e32 v1, 31, v5
	v_add_lshl_u32 v3, v4, v31, 2
	v_and_b32_e32 v0, v0, v2
	s_delay_alu instid0(VALU_DEP_3) | instskip(SKIP_3) | instid1(VALU_DEP_1)
	v_xor_b32_e32 v1, vcc_lo, v1
	ds_load_b32 v64, v3 offset:64
	v_add_nc_u32_e32 v66, 64, v3
	; wave barrier
	v_and_b32_e32 v0, v0, v1
	v_mbcnt_lo_u32_b32 v65, v0, 0
	v_cmp_ne_u32_e64 s12, 0, v0
	s_delay_alu instid0(VALU_DEP_2) | instskip(NEXT) | instid1(VALU_DEP_2)
	v_cmp_eq_u32_e32 vcc_lo, 0, v65
	s_and_b32 s14, s12, vcc_lo
	s_delay_alu instid0(SALU_CYCLE_1)
	s_and_saveexec_b32 s12, s14
	s_cbranch_execz .LBB46_22
; %bb.21:                               ;   in Loop: Header=BB46_6 Depth=2
	s_waitcnt lgkmcnt(0)
	v_bcnt_u32_b32 v0, v0, v64
	ds_store_b32 v66, v0
.LBB46_22:                              ;   in Loop: Header=BB46_6 Depth=2
	s_or_b32 exec_lo, exec_lo, s12
	; wave barrier
	s_waitcnt lgkmcnt(0)
	s_barrier
	buffer_gl0_inv
	ds_load_2addr_b64 v[4:7], v22 offset0:8 offset1:9
	ds_load_2addr_b64 v[0:3], v24 offset0:2 offset1:3
	s_waitcnt lgkmcnt(1)
	v_add_nc_u32_e32 v67, v5, v4
	s_delay_alu instid0(VALU_DEP_1) | instskip(SKIP_1) | instid1(VALU_DEP_1)
	v_add3_u32 v67, v67, v6, v7
	s_waitcnt lgkmcnt(0)
	v_add3_u32 v67, v67, v0, v1
	s_delay_alu instid0(VALU_DEP_1) | instskip(NEXT) | instid1(VALU_DEP_1)
	v_add3_u32 v3, v67, v2, v3
	v_mov_b32_dpp v67, v3 row_shr:1 row_mask:0xf bank_mask:0xf
	s_delay_alu instid0(VALU_DEP_1) | instskip(NEXT) | instid1(VALU_DEP_1)
	v_cndmask_b32_e64 v67, v67, 0, s1
	v_add_nc_u32_e32 v3, v67, v3
	s_delay_alu instid0(VALU_DEP_1) | instskip(NEXT) | instid1(VALU_DEP_1)
	v_mov_b32_dpp v67, v3 row_shr:2 row_mask:0xf bank_mask:0xf
	v_cndmask_b32_e64 v67, 0, v67, s2
	s_delay_alu instid0(VALU_DEP_1) | instskip(NEXT) | instid1(VALU_DEP_1)
	v_add_nc_u32_e32 v3, v3, v67
	v_mov_b32_dpp v67, v3 row_shr:4 row_mask:0xf bank_mask:0xf
	s_delay_alu instid0(VALU_DEP_1) | instskip(NEXT) | instid1(VALU_DEP_1)
	v_cndmask_b32_e64 v67, 0, v67, s3
	v_add_nc_u32_e32 v3, v3, v67
	s_delay_alu instid0(VALU_DEP_1) | instskip(NEXT) | instid1(VALU_DEP_1)
	v_mov_b32_dpp v67, v3 row_shr:8 row_mask:0xf bank_mask:0xf
	v_cndmask_b32_e64 v67, 0, v67, s4
	s_delay_alu instid0(VALU_DEP_1) | instskip(SKIP_3) | instid1(VALU_DEP_1)
	v_add_nc_u32_e32 v3, v3, v67
	ds_swizzle_b32 v67, v3 offset:swizzle(BROADCAST,32,15)
	s_waitcnt lgkmcnt(0)
	v_cndmask_b32_e64 v67, v67, 0, s5
	v_add_nc_u32_e32 v3, v3, v67
	s_and_saveexec_b32 s12, s6
	s_cbranch_execz .LBB46_24
; %bb.23:                               ;   in Loop: Header=BB46_6 Depth=2
	ds_store_b32 v36, v3
.LBB46_24:                              ;   in Loop: Header=BB46_6 Depth=2
	s_or_b32 exec_lo, exec_lo, s12
	s_waitcnt lgkmcnt(0)
	s_barrier
	buffer_gl0_inv
	s_and_saveexec_b32 s12, s7
	s_cbranch_execz .LBB46_26
; %bb.25:                               ;   in Loop: Header=BB46_6 Depth=2
	ds_load_b32 v67, v33
	s_waitcnt lgkmcnt(0)
	v_mov_b32_dpp v68, v67 row_shr:1 row_mask:0xf bank_mask:0xf
	s_delay_alu instid0(VALU_DEP_1) | instskip(NEXT) | instid1(VALU_DEP_1)
	v_cndmask_b32_e64 v68, v68, 0, s1
	v_add_nc_u32_e32 v67, v68, v67
	s_delay_alu instid0(VALU_DEP_1) | instskip(NEXT) | instid1(VALU_DEP_1)
	v_mov_b32_dpp v68, v67 row_shr:2 row_mask:0xf bank_mask:0xf
	v_cndmask_b32_e64 v68, 0, v68, s2
	s_delay_alu instid0(VALU_DEP_1) | instskip(NEXT) | instid1(VALU_DEP_1)
	v_add_nc_u32_e32 v67, v67, v68
	v_mov_b32_dpp v68, v67 row_shr:4 row_mask:0xf bank_mask:0xf
	s_delay_alu instid0(VALU_DEP_1) | instskip(NEXT) | instid1(VALU_DEP_1)
	v_cndmask_b32_e64 v68, 0, v68, s3
	v_add_nc_u32_e32 v67, v67, v68
	s_delay_alu instid0(VALU_DEP_1) | instskip(NEXT) | instid1(VALU_DEP_1)
	v_mov_b32_dpp v68, v67 row_shr:8 row_mask:0xf bank_mask:0xf
	v_cndmask_b32_e64 v68, 0, v68, s4
	s_delay_alu instid0(VALU_DEP_1)
	v_add_nc_u32_e32 v67, v67, v68
	ds_store_b32 v33, v67
.LBB46_26:                              ;   in Loop: Header=BB46_6 Depth=2
	s_or_b32 exec_lo, exec_lo, s12
	v_mov_b32_e32 v67, 0
	s_waitcnt lgkmcnt(0)
	s_barrier
	buffer_gl0_inv
	s_and_saveexec_b32 s12, s8
	s_cbranch_execz .LBB46_28
; %bb.27:                               ;   in Loop: Header=BB46_6 Depth=2
	ds_load_b32 v67, v38
.LBB46_28:                              ;   in Loop: Header=BB46_6 Depth=2
	s_or_b32 exec_lo, exec_lo, s12
	s_waitcnt lgkmcnt(0)
	v_add_nc_u32_e32 v3, v67, v3
	s_cmp_gt_u32 s13, 23
	ds_bpermute_b32 v3, v35, v3
	s_waitcnt lgkmcnt(0)
	v_cndmask_b32_e64 v3, v3, v67, s9
	s_delay_alu instid0(VALU_DEP_1) | instskip(NEXT) | instid1(VALU_DEP_1)
	v_cndmask_b32_e64 v3, v3, 0, s10
	v_add_nc_u32_e32 v4, v3, v4
	s_delay_alu instid0(VALU_DEP_1) | instskip(NEXT) | instid1(VALU_DEP_1)
	v_add_nc_u32_e32 v5, v4, v5
	v_add_nc_u32_e32 v6, v5, v6
	s_delay_alu instid0(VALU_DEP_1) | instskip(NEXT) | instid1(VALU_DEP_1)
	v_add_nc_u32_e32 v67, v6, v7
	;; [unrolled: 3-line block ×3, first 2 shown]
	v_add_nc_u32_e32 v1, v0, v2
	ds_store_2addr_b64 v22, v[3:4], v[5:6] offset0:8 offset1:9
	ds_store_2addr_b64 v24, v[67:68], v[0:1] offset0:2 offset1:3
	s_waitcnt lgkmcnt(0)
	s_barrier
	buffer_gl0_inv
	ds_load_b32 v0, v45
	ds_load_b32 v1, v48
	;; [unrolled: 1-line block ×8, first 2 shown]
	s_waitcnt lgkmcnt(7)
	v_add_nc_u32_e32 v54, v0, v44
	s_waitcnt lgkmcnt(6)
	v_add3_u32 v51, v47, v46, v1
	s_waitcnt lgkmcnt(5)
	v_add3_u32 v49, v50, v49, v2
	;; [unrolled: 2-line block ×7, first 2 shown]
	s_cbranch_scc0 .LBB46_5
; %bb.29:                               ;   in Loop: Header=BB46_2 Depth=1
                                        ; implicit-def: $vgpr7
                                        ; implicit-def: $vgpr5
                                        ; implicit-def: $vgpr3
                                        ; implicit-def: $vgpr1
                                        ; implicit-def: $sgpr13
.LBB46_30:                              ;   in Loop: Header=BB46_2 Depth=1
	v_lshlrev_b32_e32 v0, 2, v54
	v_lshlrev_b32_e32 v1, 2, v51
	;; [unrolled: 1-line block ×3, first 2 shown]
	s_barrier
	buffer_gl0_inv
	ds_store_b32 v0, v8
	ds_store_b32 v1, v43
	;; [unrolled: 1-line block ×3, first 2 shown]
	v_lshlrev_b32_e32 v0, 2, v48
	v_lshlrev_b32_e32 v1, 2, v47
	;; [unrolled: 1-line block ×5, first 2 shown]
	ds_store_b32 v0, v41
	ds_store_b32 v1, v12
	;; [unrolled: 1-line block ×5, first 2 shown]
	s_waitcnt lgkmcnt(0)
	s_barrier
	buffer_gl0_inv
	ds_load_2addr_b64 v[9:12], v34 offset1:1
	ds_load_2addr_b64 v[5:8], v34 offset0:2 offset1:3
	s_waitcnt lgkmcnt(0)
	s_barrier
	buffer_gl0_inv
	s_and_saveexec_b32 s12, s0
	s_cbranch_execz .LBB46_32
; %bb.31:                               ;   in Loop: Header=BB46_2 Depth=1
	ds_store_2addr_stride64_b32 v37, v40, v40 offset0:16 offset1:24
.LBB46_32:                              ;   in Loop: Header=BB46_2 Depth=1
	s_or_b32 exec_lo, exec_lo, s12
	v_xor_b32_e32 v4, 0x80000000, v8
	v_xor_b32_e32 v3, 0x80000000, v7
	s_mov_b32 s12, exec_lo
	s_waitcnt lgkmcnt(0)
	s_barrier
	v_mov_b32_e32 v0, v4
	buffer_gl0_inv
	ds_store_b32 v33, v4
	v_cmpx_ne_u32_e64 v7, v8
	s_cbranch_execz .LBB46_34
; %bb.33:                               ;   in Loop: Header=BB46_2 Depth=1
	v_dual_mov_b32 v0, v3 :: v_dual_lshlrev_b32 v1, 2, v4
	v_lshlrev_b32_e32 v2, 2, v3
	ds_store_b32 v1, v30 offset:4096
	ds_store_b32 v2, v30 offset:6144
.LBB46_34:                              ;   in Loop: Header=BB46_2 Depth=1
	s_or_b32 exec_lo, exec_lo, s12
	v_xor_b32_e32 v2, 0x80000000, v6
	s_mov_b32 s12, exec_lo
	s_delay_alu instid0(VALU_DEP_1)
	v_lshlrev_b32_e32 v7, 2, v2
	v_cmpx_ne_u32_e64 v2, v0
	s_cbranch_execz .LBB46_36
; %bb.35:                               ;   in Loop: Header=BB46_2 Depth=1
	v_lshlrev_b32_e32 v0, 2, v0
	ds_store_b32 v0, v29 offset:4096
	ds_store_b32 v7, v29 offset:6144
.LBB46_36:                              ;   in Loop: Header=BB46_2 Depth=1
	s_or_b32 exec_lo, exec_lo, s12
	v_xor_b32_e32 v1, 0x80000000, v5
	s_mov_b32 s12, exec_lo
	s_delay_alu instid0(VALU_DEP_1)
	v_lshlrev_b32_e32 v0, 2, v1
	v_cmpx_ne_u32_e64 v5, v6
	s_cbranch_execz .LBB46_38
; %bb.37:                               ;   in Loop: Header=BB46_2 Depth=1
	ds_store_b32 v7, v28 offset:4096
	ds_store_b32 v0, v28 offset:6144
.LBB46_38:                              ;   in Loop: Header=BB46_2 Depth=1
	s_or_b32 exec_lo, exec_lo, s12
	v_xor_b32_e32 v8, 0x80000000, v12
	v_cmp_ne_u32_e32 vcc_lo, v12, v5
	s_delay_alu instid0(VALU_DEP_2)
	v_lshlrev_b32_e32 v5, 2, v8
	s_and_saveexec_b32 s12, vcc_lo
	s_cbranch_execz .LBB46_40
; %bb.39:                               ;   in Loop: Header=BB46_2 Depth=1
	ds_store_b32 v0, v27 offset:4096
	ds_store_b32 v5, v27 offset:6144
.LBB46_40:                              ;   in Loop: Header=BB46_2 Depth=1
	s_or_b32 exec_lo, exec_lo, s12
	v_xor_b32_e32 v7, 0x80000000, v11
	s_mov_b32 s12, exec_lo
	s_delay_alu instid0(VALU_DEP_1)
	v_lshlrev_b32_e32 v0, 2, v7
	v_cmpx_ne_u32_e64 v11, v12
	s_cbranch_execz .LBB46_42
; %bb.41:                               ;   in Loop: Header=BB46_2 Depth=1
	ds_store_b32 v5, v26 offset:4096
	ds_store_b32 v0, v26 offset:6144
.LBB46_42:                              ;   in Loop: Header=BB46_2 Depth=1
	s_or_b32 exec_lo, exec_lo, s12
	v_xor_b32_e32 v6, 0x80000000, v10
	v_cmp_ne_u32_e32 vcc_lo, v10, v11
	s_delay_alu instid0(VALU_DEP_2)
	v_lshlrev_b32_e32 v11, 2, v6
	s_and_saveexec_b32 s12, vcc_lo
	s_cbranch_execz .LBB46_44
; %bb.43:                               ;   in Loop: Header=BB46_2 Depth=1
	ds_store_b32 v0, v25 offset:4096
	ds_store_b32 v11, v25 offset:6144
.LBB46_44:                              ;   in Loop: Header=BB46_2 Depth=1
	s_or_b32 exec_lo, exec_lo, s12
	v_xor_b32_e32 v5, 0x80000000, v9
	s_mov_b32 s12, exec_lo
	s_delay_alu instid0(VALU_DEP_1)
	v_lshlrev_b32_e32 v0, 2, v5
	v_cmpx_ne_u32_e64 v9, v10
	s_cbranch_execz .LBB46_46
; %bb.45:                               ;   in Loop: Header=BB46_2 Depth=1
	ds_store_b32 v11, v23 offset:4096
	ds_store_b32 v0, v23 offset:6144
.LBB46_46:                              ;   in Loop: Header=BB46_2 Depth=1
	s_or_b32 exec_lo, exec_lo, s12
	s_waitcnt lgkmcnt(0)
	s_barrier
	buffer_gl0_inv
	s_and_saveexec_b32 s12, s11
	s_cbranch_execz .LBB46_49
; %bb.47:                               ;   in Loop: Header=BB46_2 Depth=1
	ds_load_b32 v9, v39
	s_waitcnt lgkmcnt(0)
	v_cmp_ne_u32_e32 vcc_lo, v9, v5
	s_and_b32 exec_lo, exec_lo, vcc_lo
	s_cbranch_execz .LBB46_49
; %bb.48:                               ;   in Loop: Header=BB46_2 Depth=1
	ds_store_b32 v0, v20 offset:4096
	ds_load_b32 v9, v39
	s_waitcnt lgkmcnt(0)
	v_lshlrev_b32_e32 v9, 2, v9
	ds_store_b32 v9, v20 offset:6144
.LBB46_49:                              ;   in Loop: Header=BB46_2 Depth=1
	s_or_b32 exec_lo, exec_lo, s12
	s_waitcnt lgkmcnt(0)
	s_barrier
	buffer_gl0_inv
	s_and_saveexec_b32 s12, s10
	s_cbranch_execz .LBB46_51
; %bb.50:                               ;   in Loop: Header=BB46_2 Depth=1
	ds_store_b32 v0, v15 offset:4096
.LBB46_51:                              ;   in Loop: Header=BB46_2 Depth=1
	s_or_b32 exec_lo, exec_lo, s12
	s_waitcnt lgkmcnt(0)
	s_barrier
	buffer_gl0_inv
	s_and_saveexec_b32 s12, s0
	s_cbranch_execz .LBB46_1
; %bb.52:                               ;   in Loop: Header=BB46_2 Depth=1
	ds_load_2addr_stride64_b32 v[9:10], v37 offset0:16 offset1:24
	ds_load_b32 v0, v32
	s_waitcnt lgkmcnt(1)
	v_sub_nc_u32_e32 v9, v10, v9
	s_waitcnt lgkmcnt(0)
	s_delay_alu instid0(VALU_DEP_1)
	v_add_nc_u32_e32 v0, v9, v0
	ds_store_b32 v32, v0
	s_branch .LBB46_1
.LBB46_53:
	s_and_saveexec_b32 s1, s0
	s_cbranch_execz .LBB46_55
; %bb.54:
	ds_load_b32 v2, v32
	v_lshl_or_b32 v0, s15, 9, v13
	v_mov_b32_e32 v1, 0
	s_delay_alu instid0(VALU_DEP_1) | instskip(NEXT) | instid1(VALU_DEP_1)
	v_lshlrev_b64 v[0:1], 2, v[0:1]
	v_add_co_u32 v0, vcc_lo, s18, v0
	s_delay_alu instid0(VALU_DEP_2)
	v_add_co_ci_u32_e32 v1, vcc_lo, s19, v1, vcc_lo
	s_waitcnt lgkmcnt(0)
	global_store_b32 v[0:1], v2, off
.LBB46_55:
	s_nop 0
	s_sendmsg sendmsg(MSG_DEALLOC_VGPRS)
	s_endpgm
	.section	.rodata,"a",@progbits
	.p2align	6, 0x0
	.amdhsa_kernel _Z6kernelI9histogramILN6hipcub23BlockHistogramAlgorithmE1EEiLj512ELj8ELj512ELj100EEvPKT0_PS4_
		.amdhsa_group_segment_fixed_size 18496
		.amdhsa_private_segment_fixed_size 0
		.amdhsa_kernarg_size 272
		.amdhsa_user_sgpr_count 15
		.amdhsa_user_sgpr_dispatch_ptr 0
		.amdhsa_user_sgpr_queue_ptr 0
		.amdhsa_user_sgpr_kernarg_segment_ptr 1
		.amdhsa_user_sgpr_dispatch_id 0
		.amdhsa_user_sgpr_private_segment_size 0
		.amdhsa_wavefront_size32 1
		.amdhsa_uses_dynamic_stack 0
		.amdhsa_enable_private_segment 0
		.amdhsa_system_sgpr_workgroup_id_x 1
		.amdhsa_system_sgpr_workgroup_id_y 0
		.amdhsa_system_sgpr_workgroup_id_z 0
		.amdhsa_system_sgpr_workgroup_info 0
		.amdhsa_system_vgpr_workitem_id 2
		.amdhsa_next_free_vgpr 69
		.amdhsa_next_free_sgpr 20
		.amdhsa_reserve_vcc 1
		.amdhsa_float_round_mode_32 0
		.amdhsa_float_round_mode_16_64 0
		.amdhsa_float_denorm_mode_32 3
		.amdhsa_float_denorm_mode_16_64 3
		.amdhsa_dx10_clamp 1
		.amdhsa_ieee_mode 1
		.amdhsa_fp16_overflow 0
		.amdhsa_workgroup_processor_mode 1
		.amdhsa_memory_ordered 1
		.amdhsa_forward_progress 0
		.amdhsa_shared_vgpr_count 0
		.amdhsa_exception_fp_ieee_invalid_op 0
		.amdhsa_exception_fp_denorm_src 0
		.amdhsa_exception_fp_ieee_div_zero 0
		.amdhsa_exception_fp_ieee_overflow 0
		.amdhsa_exception_fp_ieee_underflow 0
		.amdhsa_exception_fp_ieee_inexact 0
		.amdhsa_exception_int_div_zero 0
	.end_amdhsa_kernel
	.section	.text._Z6kernelI9histogramILN6hipcub23BlockHistogramAlgorithmE1EEiLj512ELj8ELj512ELj100EEvPKT0_PS4_,"axG",@progbits,_Z6kernelI9histogramILN6hipcub23BlockHistogramAlgorithmE1EEiLj512ELj8ELj512ELj100EEvPKT0_PS4_,comdat
.Lfunc_end46:
	.size	_Z6kernelI9histogramILN6hipcub23BlockHistogramAlgorithmE1EEiLj512ELj8ELj512ELj100EEvPKT0_PS4_, .Lfunc_end46-_Z6kernelI9histogramILN6hipcub23BlockHistogramAlgorithmE1EEiLj512ELj8ELj512ELj100EEvPKT0_PS4_
                                        ; -- End function
	.section	.AMDGPU.csdata,"",@progbits
; Kernel info:
; codeLenInByte = 5096
; NumSgprs: 22
; NumVgprs: 69
; ScratchSize: 0
; MemoryBound: 0
; FloatMode: 240
; IeeeMode: 1
; LDSByteSize: 18496 bytes/workgroup (compile time only)
; SGPRBlocks: 2
; VGPRBlocks: 8
; NumSGPRsForWavesPerEU: 22
; NumVGPRsForWavesPerEU: 69
; Occupancy: 16
; WaveLimiterHint : 0
; COMPUTE_PGM_RSRC2:SCRATCH_EN: 0
; COMPUTE_PGM_RSRC2:USER_SGPR: 15
; COMPUTE_PGM_RSRC2:TRAP_HANDLER: 0
; COMPUTE_PGM_RSRC2:TGID_X_EN: 1
; COMPUTE_PGM_RSRC2:TGID_Y_EN: 0
; COMPUTE_PGM_RSRC2:TGID_Z_EN: 0
; COMPUTE_PGM_RSRC2:TIDIG_COMP_CNT: 2
	.section	.text._Z6kernelI9histogramILN6hipcub23BlockHistogramAlgorithmE1EEiLj512ELj16ELj512ELj100EEvPKT0_PS4_,"axG",@progbits,_Z6kernelI9histogramILN6hipcub23BlockHistogramAlgorithmE1EEiLj512ELj16ELj512ELj100EEvPKT0_PS4_,comdat
	.protected	_Z6kernelI9histogramILN6hipcub23BlockHistogramAlgorithmE1EEiLj512ELj16ELj512ELj100EEvPKT0_PS4_ ; -- Begin function _Z6kernelI9histogramILN6hipcub23BlockHistogramAlgorithmE1EEiLj512ELj16ELj512ELj100EEvPKT0_PS4_
	.globl	_Z6kernelI9histogramILN6hipcub23BlockHistogramAlgorithmE1EEiLj512ELj16ELj512ELj100EEvPKT0_PS4_
	.p2align	8
	.type	_Z6kernelI9histogramILN6hipcub23BlockHistogramAlgorithmE1EEiLj512ELj16ELj512ELj100EEvPKT0_PS4_,@function
_Z6kernelI9histogramILN6hipcub23BlockHistogramAlgorithmE1EEiLj512ELj16ELj512ELj100EEvPKT0_PS4_: ; @_Z6kernelI9histogramILN6hipcub23BlockHistogramAlgorithmE1EEiLj512ELj16ELj512ELj100EEvPKT0_PS4_
; %bb.0:
	v_and_b32_e32 v16, 0x3ff, v0
	s_clause 0x1
	s_load_b128 s[16:19], s[0:1], 0x0
	s_load_b32 s11, s[0:1], 0x1c
	s_delay_alu instid0(VALU_DEP_1) | instskip(NEXT) | instid1(VALU_DEP_1)
	v_dual_mov_b32 v18, 0 :: v_dual_lshlrev_b32 v19, 4, v16
	v_lshl_or_b32 v17, s15, 13, v19
	v_or_b32_e32 v26, 1, v19
	v_or_b32_e32 v27, 2, v19
	;; [unrolled: 1-line block ×4, first 2 shown]
	v_lshlrev_b64 v[1:2], 2, v[17:18]
	v_or_b32_e32 v30, 5, v19
	v_or_b32_e32 v31, 6, v19
	;; [unrolled: 1-line block ×5, first 2 shown]
	s_waitcnt lgkmcnt(0)
	v_add_co_u32 v5, vcc_lo, s16, v1
	v_add_co_ci_u32_e32 v6, vcc_lo, s17, v2, vcc_lo
	s_lshr_b32 s12, s11, 16
	s_and_b32 s11, s11, 0xffff
	v_or_b32_e32 v35, 10, v19
	s_clause 0x3
	global_load_b128 v[1:4], v[5:6], off
	global_load_b128 v[8:11], v[5:6], off offset:16
	global_load_b128 v[48:51], v[5:6], off offset:32
	;; [unrolled: 1-line block ×3, first 2 shown]
	v_mbcnt_lo_u32_b32 v5, -1, 0
	v_bfe_u32 v6, v0, 10, 10
	v_bfe_u32 v0, v0, 20, 10
	v_mov_b32_e32 v17, 0x2000
	v_or_b32_e32 v36, 11, v19
	v_and_b32_e32 v12, 16, v5
	v_add_nc_u32_e32 v13, -1, v5
	v_and_b32_e32 v7, 15, v5
	v_mad_u32_u24 v0, v0, s12, v6
	v_and_or_b32 v15, 0x1e00, v19, v5
	v_cmp_eq_u32_e64 s6, 0, v12
	v_cmp_gt_i32_e32 vcc_lo, 0, v13
	v_cmp_eq_u32_e64 s2, 0, v7
	v_cmp_lt_u32_e64 s3, 1, v7
	v_cmp_lt_u32_e64 s4, 3, v7
	;; [unrolled: 1-line block ×3, first 2 shown]
	v_cndmask_b32_e32 v7, v13, v5, vcc_lo
	v_lshlrev_b32_e32 v21, 5, v16
	v_and_b32_e32 v14, 0x1e0, v16
	v_lshrrev_b32_e32 v12, 3, v16
	v_cmp_eq_u32_e64 s1, 0, v5
	v_lshlrev_b32_e32 v44, 2, v15
	v_mad_i32_i24 v25, 0xffffffe4, v16, v21
	v_or_b32_e32 v13, v5, v14
	v_mad_u64_u32 v[5:6], null, v0, s11, v[16:17]
	v_or_b32_e32 v14, 31, v14
	s_delay_alu instid0(VALU_DEP_4)
	v_mad_u32_u24 v40, v16, 60, v25
	v_and_b32_e32 v24, 60, v12
	v_cmp_gt_u32_e64 s0, 0x200, v16
	v_cmp_gt_u32_e64 s7, 16, v16
	v_cmp_lt_u32_e64 s8, 31, v16
	v_mad_i32_i24 v42, 0xffffffc4, v16, v40
	v_cmp_eq_u32_e64 s9, 0, v16
	v_cmp_ne_u32_e64 s10, 0, v16
	v_lshl_or_b32 v20, v16, 2, 0x8000
	v_add_nc_u32_e32 v22, 64, v21
	v_lshlrev_b32_e32 v23, 2, v7
	v_or_b32_e32 v37, 12, v19
	v_or_b32_e32 v38, 13, v19
	v_or_b32_e32 v39, 14, v19
	v_or_b32_e32 v41, 15, v19
	v_lshlrev_b32_e32 v43, 6, v13
	v_cmp_eq_u32_e64 s11, v14, v16
	v_add_nc_u32_e32 v45, -4, v24
	v_add_nc_u32_e32 v46, -4, v42
	v_lshrrev_b32_e32 v47, 5, v5
	s_mov_b32 s16, 0
	s_delay_alu instid0(SALU_CYCLE_1)
	s_mov_b32 s17, s16
	s_mov_b32 s20, s16
	;; [unrolled: 1-line block ×4, first 2 shown]
	s_waitcnt vmcnt(3)
	v_xor_b32_e32 v12, 0x80000000, v1
	v_xor_b32_e32 v13, 0x80000000, v2
	v_xor_b32_e32 v14, 0x80000000, v3
	v_xor_b32_e32 v15, 0x80000000, v4
	s_waitcnt vmcnt(2)
	v_xor_b32_e32 v8, 0x80000000, v8
	v_xor_b32_e32 v9, 0x80000000, v9
	v_xor_b32_e32 v10, 0x80000000, v10
	v_xor_b32_e32 v11, 0x80000000, v11
	;; [unrolled: 5-line block ×4, first 2 shown]
	v_add_nc_u32_e32 v48, 0x400, v44
	s_branch .LBB47_2
.LBB47_1:                               ;   in Loop: Header=BB47_2 Depth=1
	s_or_b32 exec_lo, exec_lo, s12
	s_add_i32 s13, s13, 1
	s_delay_alu instid0(SALU_CYCLE_1)
	s_cmpk_eq_i32 s13, 0x64
	s_cbranch_scc1 .LBB47_85
.LBB47_2:                               ; =>This Loop Header: Depth=1
                                        ;     Child Loop BB47_6 Depth 2
	s_and_saveexec_b32 s12, s0
	s_cbranch_execz .LBB47_4
; %bb.3:                                ;   in Loop: Header=BB47_2 Depth=1
	ds_store_b32 v20, v18
.LBB47_4:                               ;   in Loop: Header=BB47_2 Depth=1
	s_or_b32 exec_lo, exec_lo, s12
	s_waitcnt lgkmcnt(0)
	s_barrier
	buffer_gl0_inv
	ds_store_2addr_b64 v43, v[12:13], v[14:15] offset1:1
	ds_store_2addr_b64 v43, v[8:9], v[10:11] offset0:2 offset1:3
	ds_store_2addr_b64 v43, v[4:5], v[6:7] offset0:4 offset1:5
	;; [unrolled: 1-line block ×3, first 2 shown]
	; wave barrier
	ds_load_2addr_b32 v[14:15], v44 offset1:32
	ds_load_2addr_b32 v[12:13], v44 offset0:64 offset1:96
	ds_load_2addr_b32 v[10:11], v44 offset0:128 offset1:160
	;; [unrolled: 1-line block ×3, first 2 shown]
	ds_load_2addr_b32 v[2:3], v48 offset1:32
	ds_load_2addr_b32 v[4:5], v48 offset0:64 offset1:96
	ds_load_2addr_b32 v[6:7], v48 offset0:128 offset1:160
	;; [unrolled: 1-line block ×3, first 2 shown]
	s_mov_b32 s14, 0
	s_waitcnt lgkmcnt(0)
	s_barrier
	buffer_gl0_inv
	; wave barrier
	s_barrier
	s_branch .LBB47_6
.LBB47_5:                               ;   in Loop: Header=BB47_6 Depth=2
	v_lshlrev_b32_e32 v0, 2, v91
	v_lshlrev_b32_e32 v1, 2, v88
	s_barrier
	buffer_gl0_inv
	ds_store_b32 v0, v51
	v_lshlrev_b32_e32 v0, 2, v85
	v_lshlrev_b32_e32 v2, 2, v82
	v_lshlrev_b32_e32 v3, 2, v79
	v_lshlrev_b32_e32 v4, 2, v76
	ds_store_b32 v1, v50
	ds_store_b32 v0, v49
	ds_store_b32 v2, v52
	ds_store_b32 v3, v53
	ds_store_b32 v4, v54
	v_lshlrev_b32_e32 v0, 2, v74
	v_lshlrev_b32_e32 v1, 2, v73
	;; [unrolled: 1-line block ×5, first 2 shown]
	ds_store_b32 v0, v55
	ds_store_b32 v1, v60
	;; [unrolled: 1-line block ×5, first 2 shown]
	v_lshlrev_b32_e32 v0, 2, v69
	v_lshlrev_b32_e32 v1, 2, v68
	;; [unrolled: 1-line block ×5, first 2 shown]
	ds_store_b32 v0, v56
	ds_store_b32 v1, v59
	;; [unrolled: 1-line block ×5, first 2 shown]
	s_waitcnt lgkmcnt(0)
	s_barrier
	buffer_gl0_inv
	ds_load_2addr_b32 v[14:15], v44 offset1:32
	ds_load_2addr_b32 v[12:13], v44 offset0:64 offset1:96
	ds_load_2addr_b32 v[10:11], v44 offset0:128 offset1:160
	;; [unrolled: 1-line block ×3, first 2 shown]
	ds_load_2addr_b32 v[2:3], v48 offset1:32
	ds_load_2addr_b32 v[4:5], v48 offset0:64 offset1:96
	ds_load_2addr_b32 v[6:7], v48 offset0:128 offset1:160
	;; [unrolled: 1-line block ×3, first 2 shown]
	s_add_i32 s14, s14, 8
	s_waitcnt lgkmcnt(0)
	s_barrier
	s_cbranch_execz .LBB47_46
.LBB47_6:                               ;   Parent Loop BB47_2 Depth=1
                                        ; =>  This Inner Loop Header: Depth=2
	v_dual_mov_b32 v51, v14 :: v_dual_mov_b32 v50, v15
	v_dual_mov_b32 v49, v12 :: v_dual_mov_b32 v52, v13
	buffer_gl0_inv
	v_bfe_u32 v12, v51, s14, 1
	v_lshrrev_b32_e32 v13, s14, v51
	v_dual_mov_b32 v53, v10 :: v_dual_mov_b32 v54, v11
	v_mov_b32_e32 v58, v7
	s_delay_alu instid0(VALU_DEP_4) | instskip(NEXT) | instid1(VALU_DEP_4)
	v_add_co_u32 v10, s12, v12, -1
	v_lshlrev_b32_e32 v11, 29, v13
	v_cndmask_b32_e64 v12, 0, 1, s12
	v_lshlrev_b32_e32 v14, 30, v13
	v_dual_mov_b32 v60, v1 :: v_dual_lshlrev_b32 v15, 28, v13
	v_dual_mov_b32 v62, v2 :: v_dual_lshlrev_b32 v55, 27, v13
	s_delay_alu instid0(VALU_DEP_4) | instskip(NEXT) | instid1(VALU_DEP_4)
	v_cmp_ne_u32_e32 vcc_lo, 0, v12
	v_not_b32_e32 v12, v14
	v_cmp_gt_i32_e64 s12, 0, v14
	v_not_b32_e32 v14, v11
	v_lshlrev_b32_e32 v56, 25, v13
	v_xor_b32_e32 v10, vcc_lo, v10
	v_ashrrev_i32_e32 v12, 31, v12
	v_cmp_gt_i32_e32 vcc_lo, 0, v11
	v_not_b32_e32 v11, v15
	v_ashrrev_i32_e32 v14, 31, v14
	v_and_b32_e32 v10, exec_lo, v10
	v_xor_b32_e32 v12, s12, v12
	v_cmp_gt_i32_e64 s12, 0, v15
	v_not_b32_e32 v15, v55
	v_ashrrev_i32_e32 v11, 31, v11
	v_xor_b32_e32 v14, vcc_lo, v14
	v_cmp_gt_i32_e32 vcc_lo, 0, v55
	v_dual_mov_b32 v55, v0 :: v_dual_and_b32 v10, v10, v12
	v_dual_mov_b32 v63, v4 :: v_dual_lshlrev_b32 v12, 26, v13
	v_mov_b32_e32 v59, v6
	v_ashrrev_i32_e32 v15, 31, v15
	v_xor_b32_e32 v11, s12, v11
	v_dual_mov_b32 v57, v8 :: v_dual_and_b32 v10, v10, v14
	v_not_b32_e32 v14, v12
	v_cmp_gt_i32_e64 s12, 0, v12
	v_xor_b32_e32 v12, vcc_lo, v15
	s_delay_alu instid0(VALU_DEP_4) | instskip(SKIP_3) | instid1(VALU_DEP_4)
	v_and_b32_e32 v10, v10, v11
	v_not_b32_e32 v0, v56
	v_ashrrev_i32_e32 v11, 31, v14
	v_dual_mov_b32 v64, v3 :: v_dual_lshlrev_b32 v13, 24, v13
	v_dual_mov_b32 v61, v9 :: v_dual_and_b32 v10, v10, v12
	s_delay_alu instid0(VALU_DEP_3)
	v_xor_b32_e32 v11, s12, v11
	v_cmp_gt_i32_e32 vcc_lo, 0, v56
	v_ashrrev_i32_e32 v0, 31, v0
	v_not_b32_e32 v1, v13
	v_mov_b32_e32 v56, v5
	v_and_b32_e32 v2, v10, v11
	v_bfe_u32 v5, v51, s14, 8
	v_xor_b32_e32 v0, vcc_lo, v0
	v_cmp_gt_i32_e32 vcc_lo, 0, v13
	v_ashrrev_i32_e32 v1, 31, v1
	s_delay_alu instid0(VALU_DEP_3) | instskip(NEXT) | instid1(VALU_DEP_2)
	v_and_b32_e32 v0, v2, v0
	v_xor_b32_e32 v3, vcc_lo, v1
	v_dual_mov_b32 v1, s16 :: v_dual_mov_b32 v2, s17
	s_delay_alu instid0(VALU_DEP_2)
	v_dual_mov_b32 v3, s20 :: v_dual_and_b32 v0, v0, v3
	v_mov_b32_e32 v4, s21
	ds_store_2addr_b64 v21, v[1:2], v[3:4] offset0:8 offset1:9
	ds_store_2addr_b64 v22, v[1:2], v[3:4] offset0:2 offset1:3
	v_mbcnt_lo_u32_b32 v8, v0, 0
	v_lshl_add_u32 v1, v5, 4, v47
	v_cmp_ne_u32_e64 s12, 0, v0
	s_waitcnt lgkmcnt(0)
	s_barrier
	v_cmp_eq_u32_e32 vcc_lo, 0, v8
	v_lshl_add_u32 v9, v1, 2, 64
	buffer_gl0_inv
	; wave barrier
	s_and_b32 s22, s12, vcc_lo
	s_delay_alu instid0(SALU_CYCLE_1)
	s_and_saveexec_b32 s12, s22
	s_cbranch_execz .LBB47_8
; %bb.7:                                ;   in Loop: Header=BB47_6 Depth=2
	v_bcnt_u32_b32 v0, v0, 0
	ds_store_b32 v9, v0
.LBB47_8:                               ;   in Loop: Header=BB47_6 Depth=2
	s_or_b32 exec_lo, exec_lo, s12
	v_bfe_u32 v0, v50, s14, 1
	v_lshrrev_b32_e32 v1, s14, v50
	; wave barrier
	s_delay_alu instid0(VALU_DEP_2) | instskip(NEXT) | instid1(VALU_DEP_1)
	v_add_co_u32 v0, s12, v0, -1
	v_cndmask_b32_e64 v2, 0, 1, s12
	s_delay_alu instid0(VALU_DEP_3)
	v_lshlrev_b32_e32 v3, 30, v1
	v_lshlrev_b32_e32 v4, 29, v1
	;; [unrolled: 1-line block ×4, first 2 shown]
	v_cmp_ne_u32_e32 vcc_lo, 0, v2
	v_not_b32_e32 v2, v3
	v_cmp_gt_i32_e64 s12, 0, v3
	v_not_b32_e32 v3, v4
	v_lshlrev_b32_e32 v7, 26, v1
	v_xor_b32_e32 v0, vcc_lo, v0
	v_ashrrev_i32_e32 v2, 31, v2
	v_cmp_gt_i32_e32 vcc_lo, 0, v4
	v_not_b32_e32 v4, v5
	v_ashrrev_i32_e32 v3, 31, v3
	v_and_b32_e32 v0, exec_lo, v0
	v_xor_b32_e32 v2, s12, v2
	v_cmp_gt_i32_e64 s12, 0, v5
	v_not_b32_e32 v5, v6
	v_ashrrev_i32_e32 v4, 31, v4
	v_xor_b32_e32 v3, vcc_lo, v3
	v_and_b32_e32 v0, v0, v2
	v_cmp_gt_i32_e32 vcc_lo, 0, v6
	v_not_b32_e32 v2, v7
	v_ashrrev_i32_e32 v5, 31, v5
	v_xor_b32_e32 v4, s12, v4
	v_and_b32_e32 v0, v0, v3
	v_lshlrev_b32_e32 v3, 25, v1
	v_cmp_gt_i32_e64 s12, 0, v7
	v_ashrrev_i32_e32 v2, 31, v2
	v_xor_b32_e32 v5, vcc_lo, v5
	v_and_b32_e32 v0, v0, v4
	v_not_b32_e32 v6, v3
	v_lshlrev_b32_e32 v1, 24, v1
	v_bfe_u32 v4, v50, s14, 8
	v_xor_b32_e32 v2, s12, v2
	v_and_b32_e32 v0, v0, v5
	v_cmp_gt_i32_e32 vcc_lo, 0, v3
	v_ashrrev_i32_e32 v3, 31, v6
	v_not_b32_e32 v5, v1
	v_lshlrev_b32_e32 v4, 4, v4
	v_and_b32_e32 v0, v0, v2
	s_delay_alu instid0(VALU_DEP_4) | instskip(SKIP_3) | instid1(VALU_DEP_4)
	v_xor_b32_e32 v2, vcc_lo, v3
	v_cmp_gt_i32_e32 vcc_lo, 0, v1
	v_ashrrev_i32_e32 v1, 31, v5
	v_add_lshl_u32 v3, v4, v47, 2
	v_and_b32_e32 v0, v0, v2
	s_delay_alu instid0(VALU_DEP_3) | instskip(SKIP_3) | instid1(VALU_DEP_1)
	v_xor_b32_e32 v1, vcc_lo, v1
	ds_load_b32 v10, v3 offset:64
	v_add_nc_u32_e32 v12, 64, v3
	; wave barrier
	v_and_b32_e32 v0, v0, v1
	v_mbcnt_lo_u32_b32 v11, v0, 0
	v_cmp_ne_u32_e64 s12, 0, v0
	s_delay_alu instid0(VALU_DEP_2) | instskip(NEXT) | instid1(VALU_DEP_2)
	v_cmp_eq_u32_e32 vcc_lo, 0, v11
	s_and_b32 s22, s12, vcc_lo
	s_delay_alu instid0(SALU_CYCLE_1)
	s_and_saveexec_b32 s12, s22
	s_cbranch_execz .LBB47_10
; %bb.9:                                ;   in Loop: Header=BB47_6 Depth=2
	s_waitcnt lgkmcnt(0)
	v_bcnt_u32_b32 v0, v0, v10
	ds_store_b32 v12, v0
.LBB47_10:                              ;   in Loop: Header=BB47_6 Depth=2
	s_or_b32 exec_lo, exec_lo, s12
	v_bfe_u32 v0, v49, s14, 1
	v_lshrrev_b32_e32 v1, s14, v49
	; wave barrier
	s_delay_alu instid0(VALU_DEP_2) | instskip(NEXT) | instid1(VALU_DEP_1)
	v_add_co_u32 v0, s12, v0, -1
	v_cndmask_b32_e64 v2, 0, 1, s12
	s_delay_alu instid0(VALU_DEP_3)
	v_lshlrev_b32_e32 v3, 30, v1
	v_lshlrev_b32_e32 v4, 29, v1
	v_lshlrev_b32_e32 v5, 28, v1
	v_lshlrev_b32_e32 v6, 27, v1
	v_cmp_ne_u32_e32 vcc_lo, 0, v2
	v_not_b32_e32 v2, v3
	v_cmp_gt_i32_e64 s12, 0, v3
	v_not_b32_e32 v3, v4
	v_lshlrev_b32_e32 v7, 26, v1
	v_xor_b32_e32 v0, vcc_lo, v0
	v_ashrrev_i32_e32 v2, 31, v2
	v_cmp_gt_i32_e32 vcc_lo, 0, v4
	v_not_b32_e32 v4, v5
	v_ashrrev_i32_e32 v3, 31, v3
	v_and_b32_e32 v0, exec_lo, v0
	v_xor_b32_e32 v2, s12, v2
	v_cmp_gt_i32_e64 s12, 0, v5
	v_not_b32_e32 v5, v6
	v_ashrrev_i32_e32 v4, 31, v4
	v_xor_b32_e32 v3, vcc_lo, v3
	v_and_b32_e32 v0, v0, v2
	v_cmp_gt_i32_e32 vcc_lo, 0, v6
	v_not_b32_e32 v2, v7
	v_ashrrev_i32_e32 v5, 31, v5
	v_xor_b32_e32 v4, s12, v4
	v_and_b32_e32 v0, v0, v3
	v_lshlrev_b32_e32 v3, 25, v1
	v_cmp_gt_i32_e64 s12, 0, v7
	v_ashrrev_i32_e32 v2, 31, v2
	v_xor_b32_e32 v5, vcc_lo, v5
	v_and_b32_e32 v0, v0, v4
	v_not_b32_e32 v6, v3
	v_lshlrev_b32_e32 v1, 24, v1
	v_bfe_u32 v4, v49, s14, 8
	v_xor_b32_e32 v2, s12, v2
	v_and_b32_e32 v0, v0, v5
	v_cmp_gt_i32_e32 vcc_lo, 0, v3
	v_ashrrev_i32_e32 v3, 31, v6
	v_not_b32_e32 v5, v1
	v_lshlrev_b32_e32 v4, 4, v4
	v_and_b32_e32 v0, v0, v2
	s_delay_alu instid0(VALU_DEP_4) | instskip(SKIP_3) | instid1(VALU_DEP_4)
	v_xor_b32_e32 v2, vcc_lo, v3
	v_cmp_gt_i32_e32 vcc_lo, 0, v1
	v_ashrrev_i32_e32 v1, 31, v5
	v_add_lshl_u32 v3, v4, v47, 2
	v_and_b32_e32 v0, v0, v2
	s_delay_alu instid0(VALU_DEP_3) | instskip(SKIP_3) | instid1(VALU_DEP_1)
	v_xor_b32_e32 v1, vcc_lo, v1
	ds_load_b32 v13, v3 offset:64
	v_add_nc_u32_e32 v15, 64, v3
	; wave barrier
	v_and_b32_e32 v0, v0, v1
	v_mbcnt_lo_u32_b32 v14, v0, 0
	v_cmp_ne_u32_e64 s12, 0, v0
	s_delay_alu instid0(VALU_DEP_2) | instskip(NEXT) | instid1(VALU_DEP_2)
	v_cmp_eq_u32_e32 vcc_lo, 0, v14
	s_and_b32 s22, s12, vcc_lo
	s_delay_alu instid0(SALU_CYCLE_1)
	s_and_saveexec_b32 s12, s22
	s_cbranch_execz .LBB47_12
; %bb.11:                               ;   in Loop: Header=BB47_6 Depth=2
	s_waitcnt lgkmcnt(0)
	v_bcnt_u32_b32 v0, v0, v13
	ds_store_b32 v15, v0
.LBB47_12:                              ;   in Loop: Header=BB47_6 Depth=2
	s_or_b32 exec_lo, exec_lo, s12
	v_bfe_u32 v0, v52, s14, 1
	v_lshrrev_b32_e32 v1, s14, v52
	; wave barrier
	s_delay_alu instid0(VALU_DEP_2) | instskip(NEXT) | instid1(VALU_DEP_1)
	v_add_co_u32 v0, s12, v0, -1
	v_cndmask_b32_e64 v2, 0, 1, s12
	s_delay_alu instid0(VALU_DEP_3)
	v_lshlrev_b32_e32 v3, 30, v1
	v_lshlrev_b32_e32 v4, 29, v1
	;; [unrolled: 1-line block ×4, first 2 shown]
	v_cmp_ne_u32_e32 vcc_lo, 0, v2
	v_not_b32_e32 v2, v3
	v_cmp_gt_i32_e64 s12, 0, v3
	v_not_b32_e32 v3, v4
	v_lshlrev_b32_e32 v7, 26, v1
	v_xor_b32_e32 v0, vcc_lo, v0
	v_ashrrev_i32_e32 v2, 31, v2
	v_cmp_gt_i32_e32 vcc_lo, 0, v4
	v_not_b32_e32 v4, v5
	v_ashrrev_i32_e32 v3, 31, v3
	v_and_b32_e32 v0, exec_lo, v0
	v_xor_b32_e32 v2, s12, v2
	v_cmp_gt_i32_e64 s12, 0, v5
	v_not_b32_e32 v5, v6
	v_ashrrev_i32_e32 v4, 31, v4
	v_xor_b32_e32 v3, vcc_lo, v3
	v_and_b32_e32 v0, v0, v2
	v_cmp_gt_i32_e32 vcc_lo, 0, v6
	v_not_b32_e32 v2, v7
	v_ashrrev_i32_e32 v5, 31, v5
	v_xor_b32_e32 v4, s12, v4
	v_and_b32_e32 v0, v0, v3
	v_lshlrev_b32_e32 v3, 25, v1
	v_cmp_gt_i32_e64 s12, 0, v7
	v_ashrrev_i32_e32 v2, 31, v2
	v_xor_b32_e32 v5, vcc_lo, v5
	v_and_b32_e32 v0, v0, v4
	v_not_b32_e32 v6, v3
	v_lshlrev_b32_e32 v1, 24, v1
	v_bfe_u32 v4, v52, s14, 8
	v_xor_b32_e32 v2, s12, v2
	v_and_b32_e32 v0, v0, v5
	v_cmp_gt_i32_e32 vcc_lo, 0, v3
	v_ashrrev_i32_e32 v3, 31, v6
	v_not_b32_e32 v5, v1
	v_lshlrev_b32_e32 v4, 4, v4
	v_and_b32_e32 v0, v0, v2
	s_delay_alu instid0(VALU_DEP_4) | instskip(SKIP_3) | instid1(VALU_DEP_4)
	v_xor_b32_e32 v2, vcc_lo, v3
	v_cmp_gt_i32_e32 vcc_lo, 0, v1
	v_ashrrev_i32_e32 v1, 31, v5
	v_add_lshl_u32 v3, v4, v47, 2
	v_and_b32_e32 v0, v0, v2
	s_delay_alu instid0(VALU_DEP_3) | instskip(SKIP_3) | instid1(VALU_DEP_1)
	v_xor_b32_e32 v1, vcc_lo, v1
	ds_load_b32 v65, v3 offset:64
	v_add_nc_u32_e32 v67, 64, v3
	; wave barrier
	v_and_b32_e32 v0, v0, v1
	v_mbcnt_lo_u32_b32 v66, v0, 0
	v_cmp_ne_u32_e64 s12, 0, v0
	s_delay_alu instid0(VALU_DEP_2) | instskip(NEXT) | instid1(VALU_DEP_2)
	v_cmp_eq_u32_e32 vcc_lo, 0, v66
	s_and_b32 s22, s12, vcc_lo
	s_delay_alu instid0(SALU_CYCLE_1)
	s_and_saveexec_b32 s12, s22
	s_cbranch_execz .LBB47_14
; %bb.13:                               ;   in Loop: Header=BB47_6 Depth=2
	s_waitcnt lgkmcnt(0)
	v_bcnt_u32_b32 v0, v0, v65
	ds_store_b32 v67, v0
.LBB47_14:                              ;   in Loop: Header=BB47_6 Depth=2
	s_or_b32 exec_lo, exec_lo, s12
	v_bfe_u32 v0, v53, s14, 1
	v_lshrrev_b32_e32 v1, s14, v53
	; wave barrier
	s_delay_alu instid0(VALU_DEP_2) | instskip(NEXT) | instid1(VALU_DEP_1)
	v_add_co_u32 v0, s12, v0, -1
	v_cndmask_b32_e64 v2, 0, 1, s12
	s_delay_alu instid0(VALU_DEP_3)
	v_lshlrev_b32_e32 v3, 30, v1
	v_lshlrev_b32_e32 v4, 29, v1
	;; [unrolled: 1-line block ×4, first 2 shown]
	v_cmp_ne_u32_e32 vcc_lo, 0, v2
	v_not_b32_e32 v2, v3
	v_cmp_gt_i32_e64 s12, 0, v3
	v_not_b32_e32 v3, v4
	v_lshlrev_b32_e32 v7, 26, v1
	v_xor_b32_e32 v0, vcc_lo, v0
	v_ashrrev_i32_e32 v2, 31, v2
	v_cmp_gt_i32_e32 vcc_lo, 0, v4
	v_not_b32_e32 v4, v5
	v_ashrrev_i32_e32 v3, 31, v3
	v_and_b32_e32 v0, exec_lo, v0
	v_xor_b32_e32 v2, s12, v2
	v_cmp_gt_i32_e64 s12, 0, v5
	v_not_b32_e32 v5, v6
	v_ashrrev_i32_e32 v4, 31, v4
	v_xor_b32_e32 v3, vcc_lo, v3
	v_and_b32_e32 v0, v0, v2
	v_cmp_gt_i32_e32 vcc_lo, 0, v6
	v_not_b32_e32 v2, v7
	v_ashrrev_i32_e32 v5, 31, v5
	v_xor_b32_e32 v4, s12, v4
	v_and_b32_e32 v0, v0, v3
	v_lshlrev_b32_e32 v3, 25, v1
	v_cmp_gt_i32_e64 s12, 0, v7
	v_ashrrev_i32_e32 v2, 31, v2
	v_xor_b32_e32 v5, vcc_lo, v5
	v_and_b32_e32 v0, v0, v4
	v_not_b32_e32 v6, v3
	v_lshlrev_b32_e32 v1, 24, v1
	v_bfe_u32 v4, v53, s14, 8
	v_xor_b32_e32 v2, s12, v2
	v_and_b32_e32 v0, v0, v5
	v_cmp_gt_i32_e32 vcc_lo, 0, v3
	v_ashrrev_i32_e32 v3, 31, v6
	v_not_b32_e32 v5, v1
	v_lshlrev_b32_e32 v4, 4, v4
	v_and_b32_e32 v0, v0, v2
	s_delay_alu instid0(VALU_DEP_4) | instskip(SKIP_3) | instid1(VALU_DEP_4)
	v_xor_b32_e32 v2, vcc_lo, v3
	v_cmp_gt_i32_e32 vcc_lo, 0, v1
	v_ashrrev_i32_e32 v1, 31, v5
	v_add_lshl_u32 v3, v4, v47, 2
	v_and_b32_e32 v0, v0, v2
	s_delay_alu instid0(VALU_DEP_3) | instskip(SKIP_3) | instid1(VALU_DEP_1)
	v_xor_b32_e32 v1, vcc_lo, v1
	ds_load_b32 v68, v3 offset:64
	v_add_nc_u32_e32 v70, 64, v3
	; wave barrier
	v_and_b32_e32 v0, v0, v1
	v_mbcnt_lo_u32_b32 v69, v0, 0
	v_cmp_ne_u32_e64 s12, 0, v0
	s_delay_alu instid0(VALU_DEP_2) | instskip(NEXT) | instid1(VALU_DEP_2)
	v_cmp_eq_u32_e32 vcc_lo, 0, v69
	s_and_b32 s22, s12, vcc_lo
	s_delay_alu instid0(SALU_CYCLE_1)
	s_and_saveexec_b32 s12, s22
	s_cbranch_execz .LBB47_16
; %bb.15:                               ;   in Loop: Header=BB47_6 Depth=2
	s_waitcnt lgkmcnt(0)
	v_bcnt_u32_b32 v0, v0, v68
	ds_store_b32 v70, v0
.LBB47_16:                              ;   in Loop: Header=BB47_6 Depth=2
	s_or_b32 exec_lo, exec_lo, s12
	v_bfe_u32 v0, v54, s14, 1
	v_lshrrev_b32_e32 v1, s14, v54
	; wave barrier
	s_delay_alu instid0(VALU_DEP_2) | instskip(NEXT) | instid1(VALU_DEP_1)
	v_add_co_u32 v0, s12, v0, -1
	v_cndmask_b32_e64 v2, 0, 1, s12
	s_delay_alu instid0(VALU_DEP_3)
	v_lshlrev_b32_e32 v3, 30, v1
	v_lshlrev_b32_e32 v4, 29, v1
	;; [unrolled: 1-line block ×4, first 2 shown]
	v_cmp_ne_u32_e32 vcc_lo, 0, v2
	v_not_b32_e32 v2, v3
	v_cmp_gt_i32_e64 s12, 0, v3
	v_not_b32_e32 v3, v4
	v_lshlrev_b32_e32 v7, 26, v1
	v_xor_b32_e32 v0, vcc_lo, v0
	v_ashrrev_i32_e32 v2, 31, v2
	v_cmp_gt_i32_e32 vcc_lo, 0, v4
	v_not_b32_e32 v4, v5
	v_ashrrev_i32_e32 v3, 31, v3
	v_and_b32_e32 v0, exec_lo, v0
	v_xor_b32_e32 v2, s12, v2
	v_cmp_gt_i32_e64 s12, 0, v5
	v_not_b32_e32 v5, v6
	v_ashrrev_i32_e32 v4, 31, v4
	v_xor_b32_e32 v3, vcc_lo, v3
	v_and_b32_e32 v0, v0, v2
	v_cmp_gt_i32_e32 vcc_lo, 0, v6
	v_not_b32_e32 v2, v7
	v_ashrrev_i32_e32 v5, 31, v5
	v_xor_b32_e32 v4, s12, v4
	v_and_b32_e32 v0, v0, v3
	v_lshlrev_b32_e32 v3, 25, v1
	v_cmp_gt_i32_e64 s12, 0, v7
	v_ashrrev_i32_e32 v2, 31, v2
	v_xor_b32_e32 v5, vcc_lo, v5
	v_and_b32_e32 v0, v0, v4
	v_not_b32_e32 v6, v3
	v_lshlrev_b32_e32 v1, 24, v1
	v_bfe_u32 v4, v54, s14, 8
	v_xor_b32_e32 v2, s12, v2
	v_and_b32_e32 v0, v0, v5
	v_cmp_gt_i32_e32 vcc_lo, 0, v3
	v_ashrrev_i32_e32 v3, 31, v6
	v_not_b32_e32 v5, v1
	v_lshlrev_b32_e32 v4, 4, v4
	v_and_b32_e32 v0, v0, v2
	s_delay_alu instid0(VALU_DEP_4) | instskip(SKIP_3) | instid1(VALU_DEP_4)
	v_xor_b32_e32 v2, vcc_lo, v3
	v_cmp_gt_i32_e32 vcc_lo, 0, v1
	v_ashrrev_i32_e32 v1, 31, v5
	v_add_lshl_u32 v3, v4, v47, 2
	v_and_b32_e32 v0, v0, v2
	s_delay_alu instid0(VALU_DEP_3) | instskip(SKIP_3) | instid1(VALU_DEP_1)
	v_xor_b32_e32 v1, vcc_lo, v1
	ds_load_b32 v71, v3 offset:64
	v_add_nc_u32_e32 v73, 64, v3
	; wave barrier
	v_and_b32_e32 v0, v0, v1
	v_mbcnt_lo_u32_b32 v72, v0, 0
	v_cmp_ne_u32_e64 s12, 0, v0
	s_delay_alu instid0(VALU_DEP_2) | instskip(NEXT) | instid1(VALU_DEP_2)
	v_cmp_eq_u32_e32 vcc_lo, 0, v72
	s_and_b32 s22, s12, vcc_lo
	s_delay_alu instid0(SALU_CYCLE_1)
	s_and_saveexec_b32 s12, s22
	s_cbranch_execz .LBB47_18
; %bb.17:                               ;   in Loop: Header=BB47_6 Depth=2
	s_waitcnt lgkmcnt(0)
	v_bcnt_u32_b32 v0, v0, v71
	ds_store_b32 v73, v0
.LBB47_18:                              ;   in Loop: Header=BB47_6 Depth=2
	s_or_b32 exec_lo, exec_lo, s12
	v_bfe_u32 v0, v55, s14, 1
	v_lshrrev_b32_e32 v1, s14, v55
	; wave barrier
	s_delay_alu instid0(VALU_DEP_2) | instskip(NEXT) | instid1(VALU_DEP_1)
	v_add_co_u32 v0, s12, v0, -1
	v_cndmask_b32_e64 v2, 0, 1, s12
	s_delay_alu instid0(VALU_DEP_3)
	v_lshlrev_b32_e32 v3, 30, v1
	v_lshlrev_b32_e32 v4, 29, v1
	;; [unrolled: 1-line block ×4, first 2 shown]
	v_cmp_ne_u32_e32 vcc_lo, 0, v2
	v_not_b32_e32 v2, v3
	v_cmp_gt_i32_e64 s12, 0, v3
	v_not_b32_e32 v3, v4
	v_lshlrev_b32_e32 v7, 26, v1
	v_xor_b32_e32 v0, vcc_lo, v0
	v_ashrrev_i32_e32 v2, 31, v2
	v_cmp_gt_i32_e32 vcc_lo, 0, v4
	v_not_b32_e32 v4, v5
	v_ashrrev_i32_e32 v3, 31, v3
	v_and_b32_e32 v0, exec_lo, v0
	v_xor_b32_e32 v2, s12, v2
	v_cmp_gt_i32_e64 s12, 0, v5
	v_not_b32_e32 v5, v6
	v_ashrrev_i32_e32 v4, 31, v4
	v_xor_b32_e32 v3, vcc_lo, v3
	v_and_b32_e32 v0, v0, v2
	v_cmp_gt_i32_e32 vcc_lo, 0, v6
	v_not_b32_e32 v2, v7
	v_ashrrev_i32_e32 v5, 31, v5
	v_xor_b32_e32 v4, s12, v4
	v_and_b32_e32 v0, v0, v3
	v_lshlrev_b32_e32 v3, 25, v1
	v_cmp_gt_i32_e64 s12, 0, v7
	v_ashrrev_i32_e32 v2, 31, v2
	v_xor_b32_e32 v5, vcc_lo, v5
	v_and_b32_e32 v0, v0, v4
	v_not_b32_e32 v6, v3
	v_lshlrev_b32_e32 v1, 24, v1
	v_bfe_u32 v4, v55, s14, 8
	v_xor_b32_e32 v2, s12, v2
	v_and_b32_e32 v0, v0, v5
	v_cmp_gt_i32_e32 vcc_lo, 0, v3
	v_ashrrev_i32_e32 v3, 31, v6
	v_not_b32_e32 v5, v1
	v_lshlrev_b32_e32 v4, 4, v4
	v_and_b32_e32 v0, v0, v2
	s_delay_alu instid0(VALU_DEP_4) | instskip(SKIP_3) | instid1(VALU_DEP_4)
	v_xor_b32_e32 v2, vcc_lo, v3
	v_cmp_gt_i32_e32 vcc_lo, 0, v1
	v_ashrrev_i32_e32 v1, 31, v5
	v_add_lshl_u32 v3, v4, v47, 2
	v_and_b32_e32 v0, v0, v2
	s_delay_alu instid0(VALU_DEP_3) | instskip(SKIP_3) | instid1(VALU_DEP_1)
	v_xor_b32_e32 v1, vcc_lo, v1
	ds_load_b32 v74, v3 offset:64
	v_add_nc_u32_e32 v76, 64, v3
	; wave barrier
	v_and_b32_e32 v0, v0, v1
	v_mbcnt_lo_u32_b32 v75, v0, 0
	v_cmp_ne_u32_e64 s12, 0, v0
	s_delay_alu instid0(VALU_DEP_2) | instskip(NEXT) | instid1(VALU_DEP_2)
	v_cmp_eq_u32_e32 vcc_lo, 0, v75
	s_and_b32 s22, s12, vcc_lo
	s_delay_alu instid0(SALU_CYCLE_1)
	s_and_saveexec_b32 s12, s22
	s_cbranch_execz .LBB47_20
; %bb.19:                               ;   in Loop: Header=BB47_6 Depth=2
	s_waitcnt lgkmcnt(0)
	v_bcnt_u32_b32 v0, v0, v74
	ds_store_b32 v76, v0
.LBB47_20:                              ;   in Loop: Header=BB47_6 Depth=2
	s_or_b32 exec_lo, exec_lo, s12
	v_bfe_u32 v0, v60, s14, 1
	v_lshrrev_b32_e32 v1, s14, v60
	; wave barrier
	s_delay_alu instid0(VALU_DEP_2) | instskip(NEXT) | instid1(VALU_DEP_1)
	v_add_co_u32 v0, s12, v0, -1
	v_cndmask_b32_e64 v2, 0, 1, s12
	s_delay_alu instid0(VALU_DEP_3)
	v_lshlrev_b32_e32 v3, 30, v1
	v_lshlrev_b32_e32 v4, 29, v1
	;; [unrolled: 1-line block ×4, first 2 shown]
	v_cmp_ne_u32_e32 vcc_lo, 0, v2
	v_not_b32_e32 v2, v3
	v_cmp_gt_i32_e64 s12, 0, v3
	v_not_b32_e32 v3, v4
	v_lshlrev_b32_e32 v7, 26, v1
	v_xor_b32_e32 v0, vcc_lo, v0
	v_ashrrev_i32_e32 v2, 31, v2
	v_cmp_gt_i32_e32 vcc_lo, 0, v4
	v_not_b32_e32 v4, v5
	v_ashrrev_i32_e32 v3, 31, v3
	v_and_b32_e32 v0, exec_lo, v0
	v_xor_b32_e32 v2, s12, v2
	v_cmp_gt_i32_e64 s12, 0, v5
	v_not_b32_e32 v5, v6
	v_ashrrev_i32_e32 v4, 31, v4
	v_xor_b32_e32 v3, vcc_lo, v3
	v_and_b32_e32 v0, v0, v2
	v_cmp_gt_i32_e32 vcc_lo, 0, v6
	v_not_b32_e32 v2, v7
	v_ashrrev_i32_e32 v5, 31, v5
	v_xor_b32_e32 v4, s12, v4
	v_and_b32_e32 v0, v0, v3
	v_lshlrev_b32_e32 v3, 25, v1
	v_cmp_gt_i32_e64 s12, 0, v7
	v_ashrrev_i32_e32 v2, 31, v2
	v_xor_b32_e32 v5, vcc_lo, v5
	v_and_b32_e32 v0, v0, v4
	v_not_b32_e32 v6, v3
	v_lshlrev_b32_e32 v1, 24, v1
	v_bfe_u32 v4, v60, s14, 8
	v_xor_b32_e32 v2, s12, v2
	v_and_b32_e32 v0, v0, v5
	v_cmp_gt_i32_e32 vcc_lo, 0, v3
	v_ashrrev_i32_e32 v3, 31, v6
	v_not_b32_e32 v5, v1
	v_lshlrev_b32_e32 v4, 4, v4
	v_and_b32_e32 v0, v0, v2
	s_delay_alu instid0(VALU_DEP_4) | instskip(SKIP_3) | instid1(VALU_DEP_4)
	v_xor_b32_e32 v2, vcc_lo, v3
	v_cmp_gt_i32_e32 vcc_lo, 0, v1
	v_ashrrev_i32_e32 v1, 31, v5
	v_add_lshl_u32 v3, v4, v47, 2
	v_and_b32_e32 v0, v0, v2
	s_delay_alu instid0(VALU_DEP_3) | instskip(SKIP_3) | instid1(VALU_DEP_1)
	v_xor_b32_e32 v1, vcc_lo, v1
	ds_load_b32 v77, v3 offset:64
	v_add_nc_u32_e32 v79, 64, v3
	; wave barrier
	v_and_b32_e32 v0, v0, v1
	v_mbcnt_lo_u32_b32 v78, v0, 0
	v_cmp_ne_u32_e64 s12, 0, v0
	s_delay_alu instid0(VALU_DEP_2) | instskip(NEXT) | instid1(VALU_DEP_2)
	v_cmp_eq_u32_e32 vcc_lo, 0, v78
	s_and_b32 s22, s12, vcc_lo
	s_delay_alu instid0(SALU_CYCLE_1)
	s_and_saveexec_b32 s12, s22
	s_cbranch_execz .LBB47_22
; %bb.21:                               ;   in Loop: Header=BB47_6 Depth=2
	s_waitcnt lgkmcnt(0)
	v_bcnt_u32_b32 v0, v0, v77
	ds_store_b32 v79, v0
.LBB47_22:                              ;   in Loop: Header=BB47_6 Depth=2
	s_or_b32 exec_lo, exec_lo, s12
	v_bfe_u32 v0, v62, s14, 1
	v_lshrrev_b32_e32 v1, s14, v62
	; wave barrier
	s_delay_alu instid0(VALU_DEP_2) | instskip(NEXT) | instid1(VALU_DEP_1)
	v_add_co_u32 v0, s12, v0, -1
	v_cndmask_b32_e64 v2, 0, 1, s12
	s_delay_alu instid0(VALU_DEP_3)
	v_lshlrev_b32_e32 v3, 30, v1
	v_lshlrev_b32_e32 v4, 29, v1
	;; [unrolled: 1-line block ×4, first 2 shown]
	v_cmp_ne_u32_e32 vcc_lo, 0, v2
	v_not_b32_e32 v2, v3
	v_cmp_gt_i32_e64 s12, 0, v3
	v_not_b32_e32 v3, v4
	v_lshlrev_b32_e32 v7, 26, v1
	v_xor_b32_e32 v0, vcc_lo, v0
	v_ashrrev_i32_e32 v2, 31, v2
	v_cmp_gt_i32_e32 vcc_lo, 0, v4
	v_not_b32_e32 v4, v5
	v_ashrrev_i32_e32 v3, 31, v3
	v_and_b32_e32 v0, exec_lo, v0
	v_xor_b32_e32 v2, s12, v2
	v_cmp_gt_i32_e64 s12, 0, v5
	v_not_b32_e32 v5, v6
	v_ashrrev_i32_e32 v4, 31, v4
	v_xor_b32_e32 v3, vcc_lo, v3
	v_and_b32_e32 v0, v0, v2
	v_cmp_gt_i32_e32 vcc_lo, 0, v6
	v_not_b32_e32 v2, v7
	v_ashrrev_i32_e32 v5, 31, v5
	v_xor_b32_e32 v4, s12, v4
	v_and_b32_e32 v0, v0, v3
	v_lshlrev_b32_e32 v3, 25, v1
	v_cmp_gt_i32_e64 s12, 0, v7
	v_ashrrev_i32_e32 v2, 31, v2
	v_xor_b32_e32 v5, vcc_lo, v5
	v_and_b32_e32 v0, v0, v4
	v_not_b32_e32 v6, v3
	v_lshlrev_b32_e32 v1, 24, v1
	v_bfe_u32 v4, v62, s14, 8
	v_xor_b32_e32 v2, s12, v2
	v_and_b32_e32 v0, v0, v5
	v_cmp_gt_i32_e32 vcc_lo, 0, v3
	v_ashrrev_i32_e32 v3, 31, v6
	v_not_b32_e32 v5, v1
	v_lshlrev_b32_e32 v4, 4, v4
	v_and_b32_e32 v0, v0, v2
	s_delay_alu instid0(VALU_DEP_4) | instskip(SKIP_3) | instid1(VALU_DEP_4)
	v_xor_b32_e32 v2, vcc_lo, v3
	v_cmp_gt_i32_e32 vcc_lo, 0, v1
	v_ashrrev_i32_e32 v1, 31, v5
	v_add_lshl_u32 v3, v4, v47, 2
	v_and_b32_e32 v0, v0, v2
	s_delay_alu instid0(VALU_DEP_3) | instskip(SKIP_3) | instid1(VALU_DEP_1)
	v_xor_b32_e32 v1, vcc_lo, v1
	ds_load_b32 v80, v3 offset:64
	v_add_nc_u32_e32 v82, 64, v3
	; wave barrier
	v_and_b32_e32 v0, v0, v1
	v_mbcnt_lo_u32_b32 v81, v0, 0
	v_cmp_ne_u32_e64 s12, 0, v0
	s_delay_alu instid0(VALU_DEP_2) | instskip(NEXT) | instid1(VALU_DEP_2)
	v_cmp_eq_u32_e32 vcc_lo, 0, v81
	s_and_b32 s22, s12, vcc_lo
	s_delay_alu instid0(SALU_CYCLE_1)
	s_and_saveexec_b32 s12, s22
	s_cbranch_execz .LBB47_24
; %bb.23:                               ;   in Loop: Header=BB47_6 Depth=2
	s_waitcnt lgkmcnt(0)
	v_bcnt_u32_b32 v0, v0, v80
	ds_store_b32 v82, v0
.LBB47_24:                              ;   in Loop: Header=BB47_6 Depth=2
	s_or_b32 exec_lo, exec_lo, s12
	v_bfe_u32 v0, v64, s14, 1
	v_lshrrev_b32_e32 v1, s14, v64
	; wave barrier
	s_delay_alu instid0(VALU_DEP_2) | instskip(NEXT) | instid1(VALU_DEP_1)
	v_add_co_u32 v0, s12, v0, -1
	v_cndmask_b32_e64 v2, 0, 1, s12
	s_delay_alu instid0(VALU_DEP_3)
	v_lshlrev_b32_e32 v3, 30, v1
	v_lshlrev_b32_e32 v4, 29, v1
	;; [unrolled: 1-line block ×4, first 2 shown]
	v_cmp_ne_u32_e32 vcc_lo, 0, v2
	v_not_b32_e32 v2, v3
	v_cmp_gt_i32_e64 s12, 0, v3
	v_not_b32_e32 v3, v4
	v_lshlrev_b32_e32 v7, 26, v1
	v_xor_b32_e32 v0, vcc_lo, v0
	v_ashrrev_i32_e32 v2, 31, v2
	v_cmp_gt_i32_e32 vcc_lo, 0, v4
	v_not_b32_e32 v4, v5
	v_ashrrev_i32_e32 v3, 31, v3
	v_and_b32_e32 v0, exec_lo, v0
	v_xor_b32_e32 v2, s12, v2
	v_cmp_gt_i32_e64 s12, 0, v5
	v_not_b32_e32 v5, v6
	v_ashrrev_i32_e32 v4, 31, v4
	v_xor_b32_e32 v3, vcc_lo, v3
	v_and_b32_e32 v0, v0, v2
	v_cmp_gt_i32_e32 vcc_lo, 0, v6
	v_not_b32_e32 v2, v7
	v_ashrrev_i32_e32 v5, 31, v5
	v_xor_b32_e32 v4, s12, v4
	v_and_b32_e32 v0, v0, v3
	v_lshlrev_b32_e32 v3, 25, v1
	v_cmp_gt_i32_e64 s12, 0, v7
	v_ashrrev_i32_e32 v2, 31, v2
	v_xor_b32_e32 v5, vcc_lo, v5
	v_and_b32_e32 v0, v0, v4
	v_not_b32_e32 v6, v3
	v_lshlrev_b32_e32 v1, 24, v1
	v_bfe_u32 v4, v64, s14, 8
	v_xor_b32_e32 v2, s12, v2
	v_and_b32_e32 v0, v0, v5
	v_cmp_gt_i32_e32 vcc_lo, 0, v3
	v_ashrrev_i32_e32 v3, 31, v6
	v_not_b32_e32 v5, v1
	v_lshlrev_b32_e32 v4, 4, v4
	v_and_b32_e32 v0, v0, v2
	s_delay_alu instid0(VALU_DEP_4) | instskip(SKIP_3) | instid1(VALU_DEP_4)
	v_xor_b32_e32 v2, vcc_lo, v3
	v_cmp_gt_i32_e32 vcc_lo, 0, v1
	v_ashrrev_i32_e32 v1, 31, v5
	v_add_lshl_u32 v3, v4, v47, 2
	v_and_b32_e32 v0, v0, v2
	s_delay_alu instid0(VALU_DEP_3) | instskip(SKIP_3) | instid1(VALU_DEP_1)
	v_xor_b32_e32 v1, vcc_lo, v1
	ds_load_b32 v83, v3 offset:64
	v_add_nc_u32_e32 v85, 64, v3
	; wave barrier
	v_and_b32_e32 v0, v0, v1
	v_mbcnt_lo_u32_b32 v84, v0, 0
	v_cmp_ne_u32_e64 s12, 0, v0
	s_delay_alu instid0(VALU_DEP_2) | instskip(NEXT) | instid1(VALU_DEP_2)
	v_cmp_eq_u32_e32 vcc_lo, 0, v84
	s_and_b32 s22, s12, vcc_lo
	s_delay_alu instid0(SALU_CYCLE_1)
	s_and_saveexec_b32 s12, s22
	s_cbranch_execz .LBB47_26
; %bb.25:                               ;   in Loop: Header=BB47_6 Depth=2
	s_waitcnt lgkmcnt(0)
	v_bcnt_u32_b32 v0, v0, v83
	ds_store_b32 v85, v0
.LBB47_26:                              ;   in Loop: Header=BB47_6 Depth=2
	s_or_b32 exec_lo, exec_lo, s12
	v_bfe_u32 v0, v63, s14, 1
	v_lshrrev_b32_e32 v1, s14, v63
	; wave barrier
	s_delay_alu instid0(VALU_DEP_2) | instskip(NEXT) | instid1(VALU_DEP_1)
	v_add_co_u32 v0, s12, v0, -1
	v_cndmask_b32_e64 v2, 0, 1, s12
	s_delay_alu instid0(VALU_DEP_3)
	v_lshlrev_b32_e32 v3, 30, v1
	v_lshlrev_b32_e32 v4, 29, v1
	;; [unrolled: 1-line block ×4, first 2 shown]
	v_cmp_ne_u32_e32 vcc_lo, 0, v2
	v_not_b32_e32 v2, v3
	v_cmp_gt_i32_e64 s12, 0, v3
	v_not_b32_e32 v3, v4
	v_lshlrev_b32_e32 v7, 26, v1
	v_xor_b32_e32 v0, vcc_lo, v0
	v_ashrrev_i32_e32 v2, 31, v2
	v_cmp_gt_i32_e32 vcc_lo, 0, v4
	v_not_b32_e32 v4, v5
	v_ashrrev_i32_e32 v3, 31, v3
	v_and_b32_e32 v0, exec_lo, v0
	v_xor_b32_e32 v2, s12, v2
	v_cmp_gt_i32_e64 s12, 0, v5
	v_not_b32_e32 v5, v6
	v_ashrrev_i32_e32 v4, 31, v4
	v_xor_b32_e32 v3, vcc_lo, v3
	v_and_b32_e32 v0, v0, v2
	v_cmp_gt_i32_e32 vcc_lo, 0, v6
	v_not_b32_e32 v2, v7
	v_ashrrev_i32_e32 v5, 31, v5
	v_xor_b32_e32 v4, s12, v4
	v_and_b32_e32 v0, v0, v3
	v_lshlrev_b32_e32 v3, 25, v1
	v_cmp_gt_i32_e64 s12, 0, v7
	v_ashrrev_i32_e32 v2, 31, v2
	v_xor_b32_e32 v5, vcc_lo, v5
	v_and_b32_e32 v0, v0, v4
	v_not_b32_e32 v6, v3
	v_lshlrev_b32_e32 v1, 24, v1
	v_bfe_u32 v4, v63, s14, 8
	v_xor_b32_e32 v2, s12, v2
	v_and_b32_e32 v0, v0, v5
	v_cmp_gt_i32_e32 vcc_lo, 0, v3
	v_ashrrev_i32_e32 v3, 31, v6
	v_not_b32_e32 v5, v1
	v_lshlrev_b32_e32 v4, 4, v4
	v_and_b32_e32 v0, v0, v2
	s_delay_alu instid0(VALU_DEP_4) | instskip(SKIP_3) | instid1(VALU_DEP_4)
	v_xor_b32_e32 v2, vcc_lo, v3
	v_cmp_gt_i32_e32 vcc_lo, 0, v1
	v_ashrrev_i32_e32 v1, 31, v5
	v_add_lshl_u32 v3, v4, v47, 2
	v_and_b32_e32 v0, v0, v2
	s_delay_alu instid0(VALU_DEP_3) | instskip(SKIP_3) | instid1(VALU_DEP_1)
	v_xor_b32_e32 v1, vcc_lo, v1
	ds_load_b32 v86, v3 offset:64
	v_add_nc_u32_e32 v88, 64, v3
	; wave barrier
	v_and_b32_e32 v0, v0, v1
	v_mbcnt_lo_u32_b32 v87, v0, 0
	v_cmp_ne_u32_e64 s12, 0, v0
	s_delay_alu instid0(VALU_DEP_2) | instskip(NEXT) | instid1(VALU_DEP_2)
	v_cmp_eq_u32_e32 vcc_lo, 0, v87
	s_and_b32 s22, s12, vcc_lo
	s_delay_alu instid0(SALU_CYCLE_1)
	s_and_saveexec_b32 s12, s22
	s_cbranch_execz .LBB47_28
; %bb.27:                               ;   in Loop: Header=BB47_6 Depth=2
	s_waitcnt lgkmcnt(0)
	v_bcnt_u32_b32 v0, v0, v86
	ds_store_b32 v88, v0
.LBB47_28:                              ;   in Loop: Header=BB47_6 Depth=2
	s_or_b32 exec_lo, exec_lo, s12
	v_bfe_u32 v0, v56, s14, 1
	v_lshrrev_b32_e32 v1, s14, v56
	; wave barrier
	s_delay_alu instid0(VALU_DEP_2) | instskip(NEXT) | instid1(VALU_DEP_1)
	v_add_co_u32 v0, s12, v0, -1
	v_cndmask_b32_e64 v2, 0, 1, s12
	s_delay_alu instid0(VALU_DEP_3)
	v_lshlrev_b32_e32 v3, 30, v1
	v_lshlrev_b32_e32 v4, 29, v1
	;; [unrolled: 1-line block ×4, first 2 shown]
	v_cmp_ne_u32_e32 vcc_lo, 0, v2
	v_not_b32_e32 v2, v3
	v_cmp_gt_i32_e64 s12, 0, v3
	v_not_b32_e32 v3, v4
	v_lshlrev_b32_e32 v7, 26, v1
	v_xor_b32_e32 v0, vcc_lo, v0
	v_ashrrev_i32_e32 v2, 31, v2
	v_cmp_gt_i32_e32 vcc_lo, 0, v4
	v_not_b32_e32 v4, v5
	v_ashrrev_i32_e32 v3, 31, v3
	v_and_b32_e32 v0, exec_lo, v0
	v_xor_b32_e32 v2, s12, v2
	v_cmp_gt_i32_e64 s12, 0, v5
	v_not_b32_e32 v5, v6
	v_ashrrev_i32_e32 v4, 31, v4
	v_xor_b32_e32 v3, vcc_lo, v3
	v_and_b32_e32 v0, v0, v2
	v_cmp_gt_i32_e32 vcc_lo, 0, v6
	v_not_b32_e32 v2, v7
	v_ashrrev_i32_e32 v5, 31, v5
	v_xor_b32_e32 v4, s12, v4
	v_and_b32_e32 v0, v0, v3
	v_lshlrev_b32_e32 v3, 25, v1
	v_cmp_gt_i32_e64 s12, 0, v7
	v_ashrrev_i32_e32 v2, 31, v2
	v_xor_b32_e32 v5, vcc_lo, v5
	v_and_b32_e32 v0, v0, v4
	v_not_b32_e32 v6, v3
	v_lshlrev_b32_e32 v1, 24, v1
	v_bfe_u32 v4, v56, s14, 8
	v_xor_b32_e32 v2, s12, v2
	v_and_b32_e32 v0, v0, v5
	v_cmp_gt_i32_e32 vcc_lo, 0, v3
	v_ashrrev_i32_e32 v3, 31, v6
	v_not_b32_e32 v5, v1
	v_lshlrev_b32_e32 v4, 4, v4
	v_and_b32_e32 v0, v0, v2
	s_delay_alu instid0(VALU_DEP_4) | instskip(SKIP_3) | instid1(VALU_DEP_4)
	v_xor_b32_e32 v2, vcc_lo, v3
	v_cmp_gt_i32_e32 vcc_lo, 0, v1
	v_ashrrev_i32_e32 v1, 31, v5
	v_add_lshl_u32 v3, v4, v47, 2
	v_and_b32_e32 v0, v0, v2
	s_delay_alu instid0(VALU_DEP_3) | instskip(SKIP_3) | instid1(VALU_DEP_1)
	v_xor_b32_e32 v1, vcc_lo, v1
	ds_load_b32 v89, v3 offset:64
	v_add_nc_u32_e32 v91, 64, v3
	; wave barrier
	v_and_b32_e32 v0, v0, v1
	v_mbcnt_lo_u32_b32 v90, v0, 0
	v_cmp_ne_u32_e64 s12, 0, v0
	s_delay_alu instid0(VALU_DEP_2) | instskip(NEXT) | instid1(VALU_DEP_2)
	v_cmp_eq_u32_e32 vcc_lo, 0, v90
	s_and_b32 s22, s12, vcc_lo
	s_delay_alu instid0(SALU_CYCLE_1)
	s_and_saveexec_b32 s12, s22
	s_cbranch_execz .LBB47_30
; %bb.29:                               ;   in Loop: Header=BB47_6 Depth=2
	s_waitcnt lgkmcnt(0)
	v_bcnt_u32_b32 v0, v0, v89
	ds_store_b32 v91, v0
.LBB47_30:                              ;   in Loop: Header=BB47_6 Depth=2
	s_or_b32 exec_lo, exec_lo, s12
	v_bfe_u32 v0, v59, s14, 1
	v_lshrrev_b32_e32 v1, s14, v59
	; wave barrier
	s_delay_alu instid0(VALU_DEP_2) | instskip(NEXT) | instid1(VALU_DEP_1)
	v_add_co_u32 v0, s12, v0, -1
	v_cndmask_b32_e64 v2, 0, 1, s12
	s_delay_alu instid0(VALU_DEP_3)
	v_lshlrev_b32_e32 v3, 30, v1
	v_lshlrev_b32_e32 v4, 29, v1
	v_lshlrev_b32_e32 v5, 28, v1
	v_lshlrev_b32_e32 v6, 27, v1
	v_cmp_ne_u32_e32 vcc_lo, 0, v2
	v_not_b32_e32 v2, v3
	v_cmp_gt_i32_e64 s12, 0, v3
	v_not_b32_e32 v3, v4
	v_lshlrev_b32_e32 v7, 26, v1
	v_xor_b32_e32 v0, vcc_lo, v0
	v_ashrrev_i32_e32 v2, 31, v2
	v_cmp_gt_i32_e32 vcc_lo, 0, v4
	v_not_b32_e32 v4, v5
	v_ashrrev_i32_e32 v3, 31, v3
	v_and_b32_e32 v0, exec_lo, v0
	v_xor_b32_e32 v2, s12, v2
	v_cmp_gt_i32_e64 s12, 0, v5
	v_not_b32_e32 v5, v6
	v_ashrrev_i32_e32 v4, 31, v4
	v_xor_b32_e32 v3, vcc_lo, v3
	v_and_b32_e32 v0, v0, v2
	v_cmp_gt_i32_e32 vcc_lo, 0, v6
	v_not_b32_e32 v2, v7
	v_ashrrev_i32_e32 v5, 31, v5
	v_xor_b32_e32 v4, s12, v4
	v_and_b32_e32 v0, v0, v3
	v_lshlrev_b32_e32 v3, 25, v1
	v_cmp_gt_i32_e64 s12, 0, v7
	v_ashrrev_i32_e32 v2, 31, v2
	v_xor_b32_e32 v5, vcc_lo, v5
	v_and_b32_e32 v0, v0, v4
	v_not_b32_e32 v6, v3
	v_lshlrev_b32_e32 v1, 24, v1
	v_bfe_u32 v4, v59, s14, 8
	v_xor_b32_e32 v2, s12, v2
	v_and_b32_e32 v0, v0, v5
	v_cmp_gt_i32_e32 vcc_lo, 0, v3
	v_ashrrev_i32_e32 v3, 31, v6
	v_not_b32_e32 v5, v1
	v_lshlrev_b32_e32 v4, 4, v4
	v_and_b32_e32 v0, v0, v2
	s_delay_alu instid0(VALU_DEP_4) | instskip(SKIP_3) | instid1(VALU_DEP_4)
	v_xor_b32_e32 v2, vcc_lo, v3
	v_cmp_gt_i32_e32 vcc_lo, 0, v1
	v_ashrrev_i32_e32 v1, 31, v5
	v_add_lshl_u32 v3, v4, v47, 2
	v_and_b32_e32 v0, v0, v2
	s_delay_alu instid0(VALU_DEP_3) | instskip(SKIP_3) | instid1(VALU_DEP_1)
	v_xor_b32_e32 v1, vcc_lo, v1
	ds_load_b32 v92, v3 offset:64
	v_add_nc_u32_e32 v94, 64, v3
	; wave barrier
	v_and_b32_e32 v0, v0, v1
	v_mbcnt_lo_u32_b32 v93, v0, 0
	v_cmp_ne_u32_e64 s12, 0, v0
	s_delay_alu instid0(VALU_DEP_2) | instskip(NEXT) | instid1(VALU_DEP_2)
	v_cmp_eq_u32_e32 vcc_lo, 0, v93
	s_and_b32 s22, s12, vcc_lo
	s_delay_alu instid0(SALU_CYCLE_1)
	s_and_saveexec_b32 s12, s22
	s_cbranch_execz .LBB47_32
; %bb.31:                               ;   in Loop: Header=BB47_6 Depth=2
	s_waitcnt lgkmcnt(0)
	v_bcnt_u32_b32 v0, v0, v92
	ds_store_b32 v94, v0
.LBB47_32:                              ;   in Loop: Header=BB47_6 Depth=2
	s_or_b32 exec_lo, exec_lo, s12
	v_bfe_u32 v0, v58, s14, 1
	v_lshrrev_b32_e32 v1, s14, v58
	; wave barrier
	s_delay_alu instid0(VALU_DEP_2) | instskip(NEXT) | instid1(VALU_DEP_1)
	v_add_co_u32 v0, s12, v0, -1
	v_cndmask_b32_e64 v2, 0, 1, s12
	s_delay_alu instid0(VALU_DEP_3)
	v_lshlrev_b32_e32 v3, 30, v1
	v_lshlrev_b32_e32 v4, 29, v1
	v_lshlrev_b32_e32 v5, 28, v1
	v_lshlrev_b32_e32 v6, 27, v1
	v_cmp_ne_u32_e32 vcc_lo, 0, v2
	v_not_b32_e32 v2, v3
	v_cmp_gt_i32_e64 s12, 0, v3
	v_not_b32_e32 v3, v4
	v_lshlrev_b32_e32 v7, 26, v1
	v_xor_b32_e32 v0, vcc_lo, v0
	v_ashrrev_i32_e32 v2, 31, v2
	v_cmp_gt_i32_e32 vcc_lo, 0, v4
	v_not_b32_e32 v4, v5
	v_ashrrev_i32_e32 v3, 31, v3
	v_and_b32_e32 v0, exec_lo, v0
	v_xor_b32_e32 v2, s12, v2
	v_cmp_gt_i32_e64 s12, 0, v5
	v_not_b32_e32 v5, v6
	v_ashrrev_i32_e32 v4, 31, v4
	v_xor_b32_e32 v3, vcc_lo, v3
	v_and_b32_e32 v0, v0, v2
	v_cmp_gt_i32_e32 vcc_lo, 0, v6
	v_not_b32_e32 v2, v7
	v_ashrrev_i32_e32 v5, 31, v5
	v_xor_b32_e32 v4, s12, v4
	v_and_b32_e32 v0, v0, v3
	v_lshlrev_b32_e32 v3, 25, v1
	v_cmp_gt_i32_e64 s12, 0, v7
	v_ashrrev_i32_e32 v2, 31, v2
	v_xor_b32_e32 v5, vcc_lo, v5
	v_and_b32_e32 v0, v0, v4
	v_not_b32_e32 v6, v3
	v_lshlrev_b32_e32 v1, 24, v1
	v_bfe_u32 v4, v58, s14, 8
	v_xor_b32_e32 v2, s12, v2
	v_and_b32_e32 v0, v0, v5
	v_cmp_gt_i32_e32 vcc_lo, 0, v3
	v_ashrrev_i32_e32 v3, 31, v6
	v_not_b32_e32 v5, v1
	v_lshlrev_b32_e32 v4, 4, v4
	v_and_b32_e32 v0, v0, v2
	s_delay_alu instid0(VALU_DEP_4) | instskip(SKIP_3) | instid1(VALU_DEP_4)
	v_xor_b32_e32 v2, vcc_lo, v3
	v_cmp_gt_i32_e32 vcc_lo, 0, v1
	v_ashrrev_i32_e32 v1, 31, v5
	v_add_lshl_u32 v3, v4, v47, 2
	v_and_b32_e32 v0, v0, v2
	s_delay_alu instid0(VALU_DEP_3) | instskip(SKIP_3) | instid1(VALU_DEP_1)
	v_xor_b32_e32 v1, vcc_lo, v1
	ds_load_b32 v95, v3 offset:64
	v_add_nc_u32_e32 v97, 64, v3
	; wave barrier
	v_and_b32_e32 v0, v0, v1
	v_mbcnt_lo_u32_b32 v96, v0, 0
	v_cmp_ne_u32_e64 s12, 0, v0
	s_delay_alu instid0(VALU_DEP_2) | instskip(NEXT) | instid1(VALU_DEP_2)
	v_cmp_eq_u32_e32 vcc_lo, 0, v96
	s_and_b32 s22, s12, vcc_lo
	s_delay_alu instid0(SALU_CYCLE_1)
	s_and_saveexec_b32 s12, s22
	s_cbranch_execz .LBB47_34
; %bb.33:                               ;   in Loop: Header=BB47_6 Depth=2
	s_waitcnt lgkmcnt(0)
	v_bcnt_u32_b32 v0, v0, v95
	ds_store_b32 v97, v0
.LBB47_34:                              ;   in Loop: Header=BB47_6 Depth=2
	s_or_b32 exec_lo, exec_lo, s12
	v_bfe_u32 v0, v57, s14, 1
	v_lshrrev_b32_e32 v1, s14, v57
	; wave barrier
	s_delay_alu instid0(VALU_DEP_2) | instskip(NEXT) | instid1(VALU_DEP_1)
	v_add_co_u32 v0, s12, v0, -1
	v_cndmask_b32_e64 v2, 0, 1, s12
	s_delay_alu instid0(VALU_DEP_3)
	v_lshlrev_b32_e32 v3, 30, v1
	v_lshlrev_b32_e32 v4, 29, v1
	;; [unrolled: 1-line block ×4, first 2 shown]
	v_cmp_ne_u32_e32 vcc_lo, 0, v2
	v_not_b32_e32 v2, v3
	v_cmp_gt_i32_e64 s12, 0, v3
	v_not_b32_e32 v3, v4
	v_lshlrev_b32_e32 v7, 26, v1
	v_xor_b32_e32 v0, vcc_lo, v0
	v_ashrrev_i32_e32 v2, 31, v2
	v_cmp_gt_i32_e32 vcc_lo, 0, v4
	v_not_b32_e32 v4, v5
	v_ashrrev_i32_e32 v3, 31, v3
	v_and_b32_e32 v0, exec_lo, v0
	v_xor_b32_e32 v2, s12, v2
	v_cmp_gt_i32_e64 s12, 0, v5
	v_not_b32_e32 v5, v6
	v_ashrrev_i32_e32 v4, 31, v4
	v_xor_b32_e32 v3, vcc_lo, v3
	v_and_b32_e32 v0, v0, v2
	v_cmp_gt_i32_e32 vcc_lo, 0, v6
	v_not_b32_e32 v2, v7
	v_ashrrev_i32_e32 v5, 31, v5
	v_xor_b32_e32 v4, s12, v4
	v_and_b32_e32 v0, v0, v3
	v_lshlrev_b32_e32 v3, 25, v1
	v_cmp_gt_i32_e64 s12, 0, v7
	v_ashrrev_i32_e32 v2, 31, v2
	v_xor_b32_e32 v5, vcc_lo, v5
	v_and_b32_e32 v0, v0, v4
	v_not_b32_e32 v6, v3
	v_lshlrev_b32_e32 v1, 24, v1
	v_bfe_u32 v4, v57, s14, 8
	v_xor_b32_e32 v2, s12, v2
	v_and_b32_e32 v0, v0, v5
	v_cmp_gt_i32_e32 vcc_lo, 0, v3
	v_ashrrev_i32_e32 v3, 31, v6
	v_not_b32_e32 v5, v1
	v_lshlrev_b32_e32 v4, 4, v4
	v_and_b32_e32 v0, v0, v2
	s_delay_alu instid0(VALU_DEP_4) | instskip(SKIP_3) | instid1(VALU_DEP_4)
	v_xor_b32_e32 v2, vcc_lo, v3
	v_cmp_gt_i32_e32 vcc_lo, 0, v1
	v_ashrrev_i32_e32 v1, 31, v5
	v_add_lshl_u32 v3, v4, v47, 2
	v_and_b32_e32 v0, v0, v2
	s_delay_alu instid0(VALU_DEP_3) | instskip(SKIP_3) | instid1(VALU_DEP_1)
	v_xor_b32_e32 v1, vcc_lo, v1
	ds_load_b32 v98, v3 offset:64
	v_add_nc_u32_e32 v100, 64, v3
	; wave barrier
	v_and_b32_e32 v0, v0, v1
	v_mbcnt_lo_u32_b32 v99, v0, 0
	v_cmp_ne_u32_e64 s12, 0, v0
	s_delay_alu instid0(VALU_DEP_2) | instskip(NEXT) | instid1(VALU_DEP_2)
	v_cmp_eq_u32_e32 vcc_lo, 0, v99
	s_and_b32 s22, s12, vcc_lo
	s_delay_alu instid0(SALU_CYCLE_1)
	s_and_saveexec_b32 s12, s22
	s_cbranch_execz .LBB47_36
; %bb.35:                               ;   in Loop: Header=BB47_6 Depth=2
	s_waitcnt lgkmcnt(0)
	v_bcnt_u32_b32 v0, v0, v98
	ds_store_b32 v100, v0
.LBB47_36:                              ;   in Loop: Header=BB47_6 Depth=2
	s_or_b32 exec_lo, exec_lo, s12
	v_bfe_u32 v0, v61, s14, 1
	v_lshrrev_b32_e32 v1, s14, v61
	; wave barrier
	s_delay_alu instid0(VALU_DEP_2) | instskip(NEXT) | instid1(VALU_DEP_1)
	v_add_co_u32 v0, s12, v0, -1
	v_cndmask_b32_e64 v2, 0, 1, s12
	s_delay_alu instid0(VALU_DEP_3)
	v_lshlrev_b32_e32 v3, 30, v1
	v_lshlrev_b32_e32 v4, 29, v1
	;; [unrolled: 1-line block ×4, first 2 shown]
	v_cmp_ne_u32_e32 vcc_lo, 0, v2
	v_not_b32_e32 v2, v3
	v_cmp_gt_i32_e64 s12, 0, v3
	v_not_b32_e32 v3, v4
	v_lshlrev_b32_e32 v7, 26, v1
	v_xor_b32_e32 v0, vcc_lo, v0
	v_ashrrev_i32_e32 v2, 31, v2
	v_cmp_gt_i32_e32 vcc_lo, 0, v4
	v_not_b32_e32 v4, v5
	v_ashrrev_i32_e32 v3, 31, v3
	v_and_b32_e32 v0, exec_lo, v0
	v_xor_b32_e32 v2, s12, v2
	v_cmp_gt_i32_e64 s12, 0, v5
	v_not_b32_e32 v5, v6
	v_ashrrev_i32_e32 v4, 31, v4
	v_xor_b32_e32 v3, vcc_lo, v3
	v_and_b32_e32 v0, v0, v2
	v_cmp_gt_i32_e32 vcc_lo, 0, v6
	v_not_b32_e32 v2, v7
	v_ashrrev_i32_e32 v5, 31, v5
	v_xor_b32_e32 v4, s12, v4
	v_and_b32_e32 v0, v0, v3
	v_lshlrev_b32_e32 v3, 25, v1
	v_cmp_gt_i32_e64 s12, 0, v7
	v_ashrrev_i32_e32 v2, 31, v2
	v_xor_b32_e32 v5, vcc_lo, v5
	v_and_b32_e32 v0, v0, v4
	v_not_b32_e32 v6, v3
	v_lshlrev_b32_e32 v1, 24, v1
	v_bfe_u32 v4, v61, s14, 8
	v_xor_b32_e32 v2, s12, v2
	v_and_b32_e32 v0, v0, v5
	v_cmp_gt_i32_e32 vcc_lo, 0, v3
	v_ashrrev_i32_e32 v3, 31, v6
	v_not_b32_e32 v5, v1
	v_lshlrev_b32_e32 v4, 4, v4
	v_and_b32_e32 v0, v0, v2
	s_delay_alu instid0(VALU_DEP_4) | instskip(SKIP_3) | instid1(VALU_DEP_4)
	v_xor_b32_e32 v2, vcc_lo, v3
	v_cmp_gt_i32_e32 vcc_lo, 0, v1
	v_ashrrev_i32_e32 v1, 31, v5
	v_add_lshl_u32 v3, v4, v47, 2
	v_and_b32_e32 v0, v0, v2
	s_delay_alu instid0(VALU_DEP_3) | instskip(SKIP_3) | instid1(VALU_DEP_1)
	v_xor_b32_e32 v1, vcc_lo, v1
	ds_load_b32 v101, v3 offset:64
	v_add_nc_u32_e32 v103, 64, v3
	; wave barrier
	v_and_b32_e32 v0, v0, v1
	v_mbcnt_lo_u32_b32 v102, v0, 0
	v_cmp_ne_u32_e64 s12, 0, v0
	s_delay_alu instid0(VALU_DEP_2) | instskip(NEXT) | instid1(VALU_DEP_2)
	v_cmp_eq_u32_e32 vcc_lo, 0, v102
	s_and_b32 s22, s12, vcc_lo
	s_delay_alu instid0(SALU_CYCLE_1)
	s_and_saveexec_b32 s12, s22
	s_cbranch_execz .LBB47_38
; %bb.37:                               ;   in Loop: Header=BB47_6 Depth=2
	s_waitcnt lgkmcnt(0)
	v_bcnt_u32_b32 v0, v0, v101
	ds_store_b32 v103, v0
.LBB47_38:                              ;   in Loop: Header=BB47_6 Depth=2
	s_or_b32 exec_lo, exec_lo, s12
	; wave barrier
	s_waitcnt lgkmcnt(0)
	s_barrier
	buffer_gl0_inv
	ds_load_2addr_b64 v[4:7], v21 offset0:8 offset1:9
	ds_load_2addr_b64 v[0:3], v22 offset0:2 offset1:3
	s_waitcnt lgkmcnt(1)
	v_add_nc_u32_e32 v104, v5, v4
	s_delay_alu instid0(VALU_DEP_1) | instskip(SKIP_1) | instid1(VALU_DEP_1)
	v_add3_u32 v104, v104, v6, v7
	s_waitcnt lgkmcnt(0)
	v_add3_u32 v104, v104, v0, v1
	s_delay_alu instid0(VALU_DEP_1) | instskip(NEXT) | instid1(VALU_DEP_1)
	v_add3_u32 v3, v104, v2, v3
	v_mov_b32_dpp v104, v3 row_shr:1 row_mask:0xf bank_mask:0xf
	s_delay_alu instid0(VALU_DEP_1) | instskip(NEXT) | instid1(VALU_DEP_1)
	v_cndmask_b32_e64 v104, v104, 0, s2
	v_add_nc_u32_e32 v3, v104, v3
	s_delay_alu instid0(VALU_DEP_1) | instskip(NEXT) | instid1(VALU_DEP_1)
	v_mov_b32_dpp v104, v3 row_shr:2 row_mask:0xf bank_mask:0xf
	v_cndmask_b32_e64 v104, 0, v104, s3
	s_delay_alu instid0(VALU_DEP_1) | instskip(NEXT) | instid1(VALU_DEP_1)
	v_add_nc_u32_e32 v3, v3, v104
	v_mov_b32_dpp v104, v3 row_shr:4 row_mask:0xf bank_mask:0xf
	s_delay_alu instid0(VALU_DEP_1) | instskip(NEXT) | instid1(VALU_DEP_1)
	v_cndmask_b32_e64 v104, 0, v104, s4
	v_add_nc_u32_e32 v3, v3, v104
	s_delay_alu instid0(VALU_DEP_1) | instskip(NEXT) | instid1(VALU_DEP_1)
	v_mov_b32_dpp v104, v3 row_shr:8 row_mask:0xf bank_mask:0xf
	v_cndmask_b32_e64 v104, 0, v104, s5
	s_delay_alu instid0(VALU_DEP_1) | instskip(SKIP_3) | instid1(VALU_DEP_1)
	v_add_nc_u32_e32 v3, v3, v104
	ds_swizzle_b32 v104, v3 offset:swizzle(BROADCAST,32,15)
	s_waitcnt lgkmcnt(0)
	v_cndmask_b32_e64 v104, v104, 0, s6
	v_add_nc_u32_e32 v3, v3, v104
	s_and_saveexec_b32 s12, s11
	s_cbranch_execz .LBB47_40
; %bb.39:                               ;   in Loop: Header=BB47_6 Depth=2
	ds_store_b32 v24, v3
.LBB47_40:                              ;   in Loop: Header=BB47_6 Depth=2
	s_or_b32 exec_lo, exec_lo, s12
	s_waitcnt lgkmcnt(0)
	s_barrier
	buffer_gl0_inv
	s_and_saveexec_b32 s12, s7
	s_cbranch_execz .LBB47_42
; %bb.41:                               ;   in Loop: Header=BB47_6 Depth=2
	ds_load_b32 v104, v25
	s_waitcnt lgkmcnt(0)
	v_mov_b32_dpp v105, v104 row_shr:1 row_mask:0xf bank_mask:0xf
	s_delay_alu instid0(VALU_DEP_1) | instskip(NEXT) | instid1(VALU_DEP_1)
	v_cndmask_b32_e64 v105, v105, 0, s2
	v_add_nc_u32_e32 v104, v105, v104
	s_delay_alu instid0(VALU_DEP_1) | instskip(NEXT) | instid1(VALU_DEP_1)
	v_mov_b32_dpp v105, v104 row_shr:2 row_mask:0xf bank_mask:0xf
	v_cndmask_b32_e64 v105, 0, v105, s3
	s_delay_alu instid0(VALU_DEP_1) | instskip(NEXT) | instid1(VALU_DEP_1)
	v_add_nc_u32_e32 v104, v104, v105
	v_mov_b32_dpp v105, v104 row_shr:4 row_mask:0xf bank_mask:0xf
	s_delay_alu instid0(VALU_DEP_1) | instskip(NEXT) | instid1(VALU_DEP_1)
	v_cndmask_b32_e64 v105, 0, v105, s4
	v_add_nc_u32_e32 v104, v104, v105
	s_delay_alu instid0(VALU_DEP_1) | instskip(NEXT) | instid1(VALU_DEP_1)
	v_mov_b32_dpp v105, v104 row_shr:8 row_mask:0xf bank_mask:0xf
	v_cndmask_b32_e64 v105, 0, v105, s5
	s_delay_alu instid0(VALU_DEP_1)
	v_add_nc_u32_e32 v104, v104, v105
	ds_store_b32 v25, v104
.LBB47_42:                              ;   in Loop: Header=BB47_6 Depth=2
	s_or_b32 exec_lo, exec_lo, s12
	v_mov_b32_e32 v104, 0
	s_waitcnt lgkmcnt(0)
	s_barrier
	buffer_gl0_inv
	s_and_saveexec_b32 s12, s8
	s_cbranch_execz .LBB47_44
; %bb.43:                               ;   in Loop: Header=BB47_6 Depth=2
	ds_load_b32 v104, v45
.LBB47_44:                              ;   in Loop: Header=BB47_6 Depth=2
	s_or_b32 exec_lo, exec_lo, s12
	s_waitcnt lgkmcnt(0)
	v_add_nc_u32_e32 v3, v104, v3
	s_cmp_gt_u32 s14, 23
	ds_bpermute_b32 v3, v23, v3
	s_waitcnt lgkmcnt(0)
	v_cndmask_b32_e64 v3, v3, v104, s1
	s_delay_alu instid0(VALU_DEP_1) | instskip(NEXT) | instid1(VALU_DEP_1)
	v_cndmask_b32_e64 v3, v3, 0, s9
	v_add_nc_u32_e32 v4, v3, v4
	s_delay_alu instid0(VALU_DEP_1) | instskip(NEXT) | instid1(VALU_DEP_1)
	v_add_nc_u32_e32 v5, v4, v5
	v_add_nc_u32_e32 v6, v5, v6
	s_delay_alu instid0(VALU_DEP_1) | instskip(NEXT) | instid1(VALU_DEP_1)
	v_add_nc_u32_e32 v104, v6, v7
	;; [unrolled: 3-line block ×3, first 2 shown]
	v_add_nc_u32_e32 v1, v0, v2
	ds_store_2addr_b64 v21, v[3:4], v[5:6] offset0:8 offset1:9
	ds_store_2addr_b64 v22, v[104:105], v[0:1] offset0:2 offset1:3
	s_waitcnt lgkmcnt(0)
	s_barrier
	buffer_gl0_inv
	ds_load_b32 v0, v9
	ds_load_b32 v1, v12
	;; [unrolled: 1-line block ×16, first 2 shown]
	s_waitcnt lgkmcnt(15)
	v_add_nc_u32_e32 v91, v0, v8
	s_waitcnt lgkmcnt(14)
	v_add3_u32 v88, v11, v10, v1
	s_waitcnt lgkmcnt(13)
	v_add3_u32 v85, v14, v13, v2
	;; [unrolled: 2-line block ×15, first 2 shown]
	s_cbranch_scc0 .LBB47_5
; %bb.45:                               ;   in Loop: Header=BB47_2 Depth=1
                                        ; implicit-def: $sgpr14
                                        ; implicit-def: $vgpr14
                                        ; implicit-def: $vgpr12
                                        ; implicit-def: $vgpr10
                                        ; implicit-def: $vgpr0
                                        ; implicit-def: $vgpr2
                                        ; implicit-def: $vgpr4
                                        ; implicit-def: $vgpr6
                                        ; implicit-def: $vgpr8
.LBB47_46:                              ;   in Loop: Header=BB47_2 Depth=1
	v_lshlrev_b32_e32 v0, 2, v91
	v_lshlrev_b32_e32 v1, 2, v88
	s_barrier
	buffer_gl0_inv
	ds_store_b32 v0, v51
	v_lshlrev_b32_e32 v0, 2, v85
	v_lshlrev_b32_e32 v2, 2, v82
	;; [unrolled: 1-line block ×4, first 2 shown]
	ds_store_b32 v1, v50
	ds_store_b32 v0, v49
	;; [unrolled: 1-line block ×5, first 2 shown]
	v_lshlrev_b32_e32 v0, 2, v74
	v_lshlrev_b32_e32 v1, 2, v73
	;; [unrolled: 1-line block ×5, first 2 shown]
	ds_store_b32 v0, v55
	ds_store_b32 v1, v60
	ds_store_b32 v2, v62
	ds_store_b32 v3, v64
	ds_store_b32 v4, v63
	v_lshlrev_b32_e32 v0, 2, v69
	v_lshlrev_b32_e32 v1, 2, v68
	;; [unrolled: 1-line block ×5, first 2 shown]
	ds_store_b32 v0, v56
	ds_store_b32 v1, v59
	;; [unrolled: 1-line block ×5, first 2 shown]
	s_waitcnt lgkmcnt(0)
	s_barrier
	buffer_gl0_inv
	ds_load_2addr_b64 v[12:15], v40 offset1:1
	ds_load_2addr_b64 v[8:11], v40 offset0:2 offset1:3
	ds_load_2addr_b64 v[4:7], v40 offset0:4 offset1:5
	;; [unrolled: 1-line block ×3, first 2 shown]
	s_waitcnt lgkmcnt(0)
	s_barrier
	buffer_gl0_inv
	s_and_saveexec_b32 s12, s0
	s_cbranch_execz .LBB47_48
; %bb.47:                               ;   in Loop: Header=BB47_2 Depth=1
	ds_store_2addr_stride64_b32 v42, v17, v17 offset0:16 offset1:24
.LBB47_48:                              ;   in Loop: Header=BB47_2 Depth=1
	s_or_b32 exec_lo, exec_lo, s12
	v_xor_b32_e32 v49, 0x80000000, v2
	v_xor_b32_e32 v50, 0x80000000, v3
	s_mov_b32 s12, exec_lo
	s_waitcnt lgkmcnt(0)
	s_barrier
	v_lshlrev_b32_e32 v49, 2, v49
	buffer_gl0_inv
	ds_store_b32 v25, v50
	v_cmpx_ne_u32_e64 v2, v3
	s_cbranch_execz .LBB47_50
; %bb.49:                               ;   in Loop: Header=BB47_2 Depth=1
	v_lshlrev_b32_e32 v50, 2, v50
	ds_store_b32 v50, v41 offset:4096
	ds_store_b32 v49, v41 offset:6144
.LBB47_50:                              ;   in Loop: Header=BB47_2 Depth=1
	s_or_b32 exec_lo, exec_lo, s12
	v_xor_b32_e32 v50, 0x80000000, v1
	s_mov_b32 s12, exec_lo
	s_delay_alu instid0(VALU_DEP_1)
	v_lshlrev_b32_e32 v50, 2, v50
	v_cmpx_ne_u32_e64 v1, v2
	s_cbranch_execz .LBB47_52
; %bb.51:                               ;   in Loop: Header=BB47_2 Depth=1
	ds_store_b32 v49, v39 offset:4096
	ds_store_b32 v50, v39 offset:6144
.LBB47_52:                              ;   in Loop: Header=BB47_2 Depth=1
	s_or_b32 exec_lo, exec_lo, s12
	v_xor_b32_e32 v49, 0x80000000, v0
	s_mov_b32 s12, exec_lo
	s_delay_alu instid0(VALU_DEP_1)
	v_lshlrev_b32_e32 v49, 2, v49
	v_cmpx_ne_u32_e64 v0, v1
	s_cbranch_execz .LBB47_54
; %bb.53:                               ;   in Loop: Header=BB47_2 Depth=1
	ds_store_b32 v50, v38 offset:4096
	ds_store_b32 v49, v38 offset:6144
.LBB47_54:                              ;   in Loop: Header=BB47_2 Depth=1
	;; [unrolled: 11-line block ×14, first 2 shown]
	s_or_b32 exec_lo, exec_lo, s12
	s_waitcnt lgkmcnt(0)
	s_barrier
	buffer_gl0_inv
	s_and_saveexec_b32 s12, s10
	s_cbranch_execz .LBB47_81
; %bb.79:                               ;   in Loop: Header=BB47_2 Depth=1
	ds_load_b32 v51, v46
	s_waitcnt lgkmcnt(0)
	v_cmp_ne_u32_e32 vcc_lo, v51, v50
	s_and_b32 exec_lo, exec_lo, vcc_lo
	s_cbranch_execz .LBB47_81
; %bb.80:                               ;   in Loop: Header=BB47_2 Depth=1
	ds_store_b32 v49, v19 offset:4096
	ds_load_b32 v50, v46
	s_waitcnt lgkmcnt(0)
	v_lshlrev_b32_e32 v50, 2, v50
	ds_store_b32 v50, v19 offset:6144
.LBB47_81:                              ;   in Loop: Header=BB47_2 Depth=1
	s_or_b32 exec_lo, exec_lo, s12
	s_waitcnt lgkmcnt(0)
	s_barrier
	buffer_gl0_inv
	s_and_saveexec_b32 s12, s9
	s_cbranch_execz .LBB47_83
; %bb.82:                               ;   in Loop: Header=BB47_2 Depth=1
	ds_store_b32 v49, v18 offset:4096
.LBB47_83:                              ;   in Loop: Header=BB47_2 Depth=1
	s_or_b32 exec_lo, exec_lo, s12
	s_waitcnt lgkmcnt(0)
	s_barrier
	buffer_gl0_inv
	s_and_saveexec_b32 s12, s0
	s_cbranch_execz .LBB47_1
; %bb.84:                               ;   in Loop: Header=BB47_2 Depth=1
	ds_load_2addr_stride64_b32 v[49:50], v42 offset0:16 offset1:24
	ds_load_b32 v51, v20
	s_waitcnt lgkmcnt(1)
	v_sub_nc_u32_e32 v49, v50, v49
	s_waitcnt lgkmcnt(0)
	s_delay_alu instid0(VALU_DEP_1)
	v_add_nc_u32_e32 v49, v49, v51
	ds_store_b32 v20, v49
	s_branch .LBB47_1
.LBB47_85:
	s_and_saveexec_b32 s1, s0
	s_cbranch_execz .LBB47_87
; %bb.86:
	ds_load_b32 v2, v20
	v_lshl_or_b32 v0, s15, 9, v16
	v_mov_b32_e32 v1, 0
	s_delay_alu instid0(VALU_DEP_1) | instskip(NEXT) | instid1(VALU_DEP_1)
	v_lshlrev_b64 v[0:1], 2, v[0:1]
	v_add_co_u32 v0, vcc_lo, s18, v0
	s_delay_alu instid0(VALU_DEP_2)
	v_add_co_ci_u32_e32 v1, vcc_lo, s19, v1, vcc_lo
	s_waitcnt lgkmcnt(0)
	global_store_b32 v[0:1], v2, off
.LBB47_87:
	s_nop 0
	s_sendmsg sendmsg(MSG_DEALLOC_VGPRS)
	s_endpgm
	.section	.rodata,"a",@progbits
	.p2align	6, 0x0
	.amdhsa_kernel _Z6kernelI9histogramILN6hipcub23BlockHistogramAlgorithmE1EEiLj512ELj16ELj512ELj100EEvPKT0_PS4_
		.amdhsa_group_segment_fixed_size 34816
		.amdhsa_private_segment_fixed_size 0
		.amdhsa_kernarg_size 272
		.amdhsa_user_sgpr_count 15
		.amdhsa_user_sgpr_dispatch_ptr 0
		.amdhsa_user_sgpr_queue_ptr 0
		.amdhsa_user_sgpr_kernarg_segment_ptr 1
		.amdhsa_user_sgpr_dispatch_id 0
		.amdhsa_user_sgpr_private_segment_size 0
		.amdhsa_wavefront_size32 1
		.amdhsa_uses_dynamic_stack 0
		.amdhsa_enable_private_segment 0
		.amdhsa_system_sgpr_workgroup_id_x 1
		.amdhsa_system_sgpr_workgroup_id_y 0
		.amdhsa_system_sgpr_workgroup_id_z 0
		.amdhsa_system_sgpr_workgroup_info 0
		.amdhsa_system_vgpr_workitem_id 2
		.amdhsa_next_free_vgpr 106
		.amdhsa_next_free_sgpr 23
		.amdhsa_reserve_vcc 1
		.amdhsa_float_round_mode_32 0
		.amdhsa_float_round_mode_16_64 0
		.amdhsa_float_denorm_mode_32 3
		.amdhsa_float_denorm_mode_16_64 3
		.amdhsa_dx10_clamp 1
		.amdhsa_ieee_mode 1
		.amdhsa_fp16_overflow 0
		.amdhsa_workgroup_processor_mode 1
		.amdhsa_memory_ordered 1
		.amdhsa_forward_progress 0
		.amdhsa_shared_vgpr_count 0
		.amdhsa_exception_fp_ieee_invalid_op 0
		.amdhsa_exception_fp_denorm_src 0
		.amdhsa_exception_fp_ieee_div_zero 0
		.amdhsa_exception_fp_ieee_overflow 0
		.amdhsa_exception_fp_ieee_underflow 0
		.amdhsa_exception_fp_ieee_inexact 0
		.amdhsa_exception_int_div_zero 0
	.end_amdhsa_kernel
	.section	.text._Z6kernelI9histogramILN6hipcub23BlockHistogramAlgorithmE1EEiLj512ELj16ELj512ELj100EEvPKT0_PS4_,"axG",@progbits,_Z6kernelI9histogramILN6hipcub23BlockHistogramAlgorithmE1EEiLj512ELj16ELj512ELj100EEvPKT0_PS4_,comdat
.Lfunc_end47:
	.size	_Z6kernelI9histogramILN6hipcub23BlockHistogramAlgorithmE1EEiLj512ELj16ELj512ELj100EEvPKT0_PS4_, .Lfunc_end47-_Z6kernelI9histogramILN6hipcub23BlockHistogramAlgorithmE1EEiLj512ELj16ELj512ELj100EEvPKT0_PS4_
                                        ; -- End function
	.section	.AMDGPU.csdata,"",@progbits
; Kernel info:
; codeLenInByte = 8772
; NumSgprs: 25
; NumVgprs: 106
; ScratchSize: 0
; MemoryBound: 0
; FloatMode: 240
; IeeeMode: 1
; LDSByteSize: 34816 bytes/workgroup (compile time only)
; SGPRBlocks: 3
; VGPRBlocks: 13
; NumSGPRsForWavesPerEU: 25
; NumVGPRsForWavesPerEU: 106
; Occupancy: 12
; WaveLimiterHint : 0
; COMPUTE_PGM_RSRC2:SCRATCH_EN: 0
; COMPUTE_PGM_RSRC2:USER_SGPR: 15
; COMPUTE_PGM_RSRC2:TRAP_HANDLER: 0
; COMPUTE_PGM_RSRC2:TGID_X_EN: 1
; COMPUTE_PGM_RSRC2:TGID_Y_EN: 0
; COMPUTE_PGM_RSRC2:TGID_Z_EN: 0
; COMPUTE_PGM_RSRC2:TIDIG_COMP_CNT: 2
	.section	.text._Z6kernelI9histogramILN6hipcub23BlockHistogramAlgorithmE1EEyLj256ELj1ELj256ELj100EEvPKT0_PS4_,"axG",@progbits,_Z6kernelI9histogramILN6hipcub23BlockHistogramAlgorithmE1EEyLj256ELj1ELj256ELj100EEvPKT0_PS4_,comdat
	.protected	_Z6kernelI9histogramILN6hipcub23BlockHistogramAlgorithmE1EEyLj256ELj1ELj256ELj100EEvPKT0_PS4_ ; -- Begin function _Z6kernelI9histogramILN6hipcub23BlockHistogramAlgorithmE1EEyLj256ELj1ELj256ELj100EEvPKT0_PS4_
	.globl	_Z6kernelI9histogramILN6hipcub23BlockHistogramAlgorithmE1EEyLj256ELj1ELj256ELj100EEvPKT0_PS4_
	.p2align	8
	.type	_Z6kernelI9histogramILN6hipcub23BlockHistogramAlgorithmE1EEyLj256ELj1ELj256ELj100EEvPKT0_PS4_,@function
_Z6kernelI9histogramILN6hipcub23BlockHistogramAlgorithmE1EEyLj256ELj1ELj256ELj100EEvPKT0_PS4_: ; @_Z6kernelI9histogramILN6hipcub23BlockHistogramAlgorithmE1EEyLj256ELj1ELj256ELj100EEvPKT0_PS4_
; %bb.0:
	s_load_b128 s[16:19], s[0:1], 0x0
	v_and_b32_e32 v12, 0x3ff, v0
	v_mov_b32_e32 v10, 0
	s_lshl_b32 s2, s15, 8
	s_load_b32 s0, s[0:1], 0x1c
	v_bfe_u32 v3, v0, 10, 10
	v_bfe_u32 v0, v0, 20, 10
	v_mov_b32_e32 v9, v10
	v_or_b32_e32 v8, s2, v12
	v_cmp_gt_u32_e64 s7, 8, v12
	v_cmp_lt_u32_e64 s8, 31, v12
	v_cmp_eq_u32_e64 s10, 0, v12
	v_cmp_ne_u32_e64 s11, 0, v12
	v_lshlrev_b64 v[1:2], 3, v[8:9]
	v_lshlrev_b32_e32 v9, 5, v12
	v_lshl_add_u32 v23, v12, 3, 0x2020
	v_mov_b32_e32 v30, 0x100
	s_delay_alu instid0(VALU_DEP_3)
	v_mad_i32_i24 v24, 0xffffffe4, v12, v9
	s_waitcnt lgkmcnt(0)
	v_add_co_u32 v1, vcc_lo, s16, v1
	v_add_co_ci_u32_e32 v2, vcc_lo, s17, v2, vcc_lo
	s_lshr_b32 s1, s0, 16
	s_and_b32 s0, s0, 0xffff
	v_mad_u32_u24 v0, v0, s1, v3
	global_load_b64 v[1:2], v[1:2], off
	s_mov_b32 s16, 0
	s_delay_alu instid0(SALU_CYCLE_1)
	s_mov_b32 s20, s16
	v_mad_u64_u32 v[3:4], null, v0, s0, v[12:13]
	v_mbcnt_lo_u32_b32 v0, -1, 0
	s_mov_b32 s21, s16
	v_mov_b32_e32 v15, s20
	s_mov_b32 s17, s16
	s_delay_alu instid0(VALU_DEP_2) | instskip(SKIP_3) | instid1(VALU_DEP_4)
	v_dual_mov_b32 v16, s21 :: v_dual_add_nc_u32 v5, -1, v0
	v_and_b32_e32 v6, 16, v0
	v_dual_mov_b32 v13, s16 :: v_dual_and_b32 v4, 15, v0
	v_lshrrev_b32_e32 v20, 5, v3
	v_cmp_gt_i32_e32 vcc_lo, 0, v5
	v_add_nc_u32_e32 v19, 32, v9
	s_delay_alu instid0(VALU_DEP_4)
	v_cmp_eq_u32_e64 s1, 0, v4
	v_cmp_lt_u32_e64 s2, 1, v4
	v_cmp_lt_u32_e64 s3, 3, v4
	;; [unrolled: 1-line block ×3, first 2 shown]
	v_cndmask_b32_e32 v4, v5, v0, vcc_lo
	v_dual_mov_b32 v14, s17 :: v_dual_and_b32 v3, 0xe0, v12
	v_cmp_eq_u32_e64 s9, 0, v0
	v_and_b32_e32 v5, 7, v0
	s_delay_alu instid0(VALU_DEP_4)
	v_lshlrev_b32_e32 v21, 2, v4
	v_lshrrev_b32_e32 v4, 3, v12
	v_or_b32_e32 v0, v0, v3
	v_or_b32_e32 v7, 31, v3
	v_cmp_gt_u32_e64 s0, 0x100, v12
	v_cmp_eq_u32_e64 s5, 0, v6
	v_and_b32_e32 v22, 28, v4
	v_lshlrev_b32_e32 v4, 2, v12
	v_lshlrev_b32_e32 v27, 3, v0
	v_cmp_eq_u32_e64 s6, v7, v12
	v_cmp_eq_u32_e64 s12, 0, v5
	v_cmp_lt_u32_e64 s13, 1, v5
	v_add_nc_u32_e32 v25, v24, v4
	v_sub_nc_u32_e32 v0, 0, v4
	v_cmp_lt_u32_e64 s14, 3, v5
	v_add_nc_u32_e32 v26, -4, v22
	s_delay_alu instid0(VALU_DEP_4) | instskip(NEXT) | instid1(VALU_DEP_4)
	v_add_nc_u32_e32 v28, -8, v25
	v_add_nc_u32_e32 v29, v25, v0
	s_branch .LBB48_2
.LBB48_1:                               ;   in Loop: Header=BB48_2 Depth=1
	s_or_b32 exec_lo, exec_lo, s15
	s_add_i32 s16, s16, 1
	s_delay_alu instid0(SALU_CYCLE_1)
	s_cmpk_eq_i32 s16, 0x64
	s_cbranch_scc1 .LBB48_25
.LBB48_2:                               ; =>This Loop Header: Depth=1
                                        ;     Child Loop BB48_6 Depth 2
	s_and_saveexec_b32 s15, s0
	s_cbranch_execz .LBB48_4
; %bb.3:                                ;   in Loop: Header=BB48_2 Depth=1
	v_mov_b32_e32 v11, v10
	ds_store_b64 v23, v[10:11]
.LBB48_4:                               ;   in Loop: Header=BB48_2 Depth=1
	s_or_b32 exec_lo, exec_lo, s15
	s_mov_b64 s[20:21], 0
	s_waitcnt vmcnt(0) lgkmcnt(0)
	s_barrier
	s_branch .LBB48_6
.LBB48_5:                               ;   in Loop: Header=BB48_6 Depth=2
	s_delay_alu instid0(VALU_DEP_1)
	v_lshlrev_b32_e32 v1, 3, v0
	s_barrier
	buffer_gl0_inv
	s_add_u32 s20, s20, 8
	ds_store_b64 v1, v[17:18]
	s_waitcnt lgkmcnt(0)
	s_barrier
	buffer_gl0_inv
	ds_load_b64 v[1:2], v27
	s_addc_u32 s21, s21, 0
	s_waitcnt lgkmcnt(0)
	s_barrier
	s_cbranch_execz .LBB48_16
.LBB48_6:                               ;   Parent Loop BB48_2 Depth=1
                                        ; =>  This Inner Loop Header: Depth=2
	v_dual_mov_b32 v18, v2 :: v_dual_mov_b32 v17, v1
	buffer_gl0_inv
	ds_store_2addr_b64 v9, v[13:14], v[15:16] offset0:4 offset1:5
	ds_store_2addr_b64 v19, v[13:14], v[15:16] offset0:2 offset1:3
	s_waitcnt lgkmcnt(0)
	s_barrier
	v_lshrrev_b64 v[1:2], s20, v[17:18]
	buffer_gl0_inv
	; wave barrier
	v_and_b32_e32 v0, 1, v1
	v_lshlrev_b32_e32 v2, 30, v1
	v_lshlrev_b32_e32 v3, 29, v1
	;; [unrolled: 1-line block ×4, first 2 shown]
	v_add_co_u32 v0, s15, v0, -1
	s_delay_alu instid0(VALU_DEP_1)
	v_cndmask_b32_e64 v5, 0, 1, s15
	v_not_b32_e32 v31, v2
	v_cmp_gt_i32_e64 s15, 0, v2
	v_not_b32_e32 v2, v3
	v_lshlrev_b32_e32 v7, 26, v1
	v_cmp_ne_u32_e32 vcc_lo, 0, v5
	v_ashrrev_i32_e32 v31, 31, v31
	v_lshlrev_b32_e32 v11, 25, v1
	v_ashrrev_i32_e32 v2, 31, v2
	v_lshlrev_b32_e32 v5, 24, v1
	v_xor_b32_e32 v0, vcc_lo, v0
	v_cmp_gt_i32_e32 vcc_lo, 0, v3
	v_not_b32_e32 v3, v4
	v_xor_b32_e32 v31, s15, v31
	v_cmp_gt_i32_e64 s15, 0, v4
	v_and_b32_e32 v0, exec_lo, v0
	v_not_b32_e32 v4, v6
	v_ashrrev_i32_e32 v3, 31, v3
	v_xor_b32_e32 v2, vcc_lo, v2
	v_cmp_gt_i32_e32 vcc_lo, 0, v6
	v_and_b32_e32 v0, v0, v31
	v_not_b32_e32 v6, v7
	v_ashrrev_i32_e32 v4, 31, v4
	v_xor_b32_e32 v3, s15, v3
	v_cmp_gt_i32_e64 s15, 0, v7
	v_and_b32_e32 v0, v0, v2
	v_not_b32_e32 v2, v11
	v_ashrrev_i32_e32 v6, 31, v6
	v_xor_b32_e32 v4, vcc_lo, v4
	v_cmp_gt_i32_e32 vcc_lo, 0, v11
	v_and_b32_e32 v0, v0, v3
	v_not_b32_e32 v3, v5
	v_ashrrev_i32_e32 v2, 31, v2
	v_xor_b32_e32 v6, s15, v6
	v_cmp_gt_i32_e64 s15, 0, v5
	v_and_b32_e32 v0, v0, v4
	v_ashrrev_i32_e32 v3, 31, v3
	v_xor_b32_e32 v2, vcc_lo, v2
	v_and_b32_e32 v1, 0xff, v1
	s_delay_alu instid0(VALU_DEP_4) | instskip(NEXT) | instid1(VALU_DEP_4)
	v_and_b32_e32 v0, v0, v6
	v_xor_b32_e32 v3, s15, v3
	s_delay_alu instid0(VALU_DEP_3) | instskip(NEXT) | instid1(VALU_DEP_3)
	v_lshl_add_u32 v1, v1, 3, v20
	v_and_b32_e32 v0, v0, v2
	s_delay_alu instid0(VALU_DEP_2) | instskip(NEXT) | instid1(VALU_DEP_2)
	v_lshl_add_u32 v31, v1, 2, 32
	v_and_b32_e32 v0, v0, v3
	s_delay_alu instid0(VALU_DEP_1) | instskip(SKIP_1) | instid1(VALU_DEP_2)
	v_mbcnt_lo_u32_b32 v11, v0, 0
	v_cmp_ne_u32_e64 s15, 0, v0
	v_cmp_eq_u32_e32 vcc_lo, 0, v11
	s_delay_alu instid0(VALU_DEP_2) | instskip(NEXT) | instid1(SALU_CYCLE_1)
	s_and_b32 s17, s15, vcc_lo
	s_and_saveexec_b32 s15, s17
	s_cbranch_execz .LBB48_8
; %bb.7:                                ;   in Loop: Header=BB48_6 Depth=2
	v_bcnt_u32_b32 v0, v0, 0
	ds_store_b32 v31, v0
.LBB48_8:                               ;   in Loop: Header=BB48_6 Depth=2
	s_or_b32 exec_lo, exec_lo, s15
	; wave barrier
	s_waitcnt lgkmcnt(0)
	s_barrier
	buffer_gl0_inv
	ds_load_2addr_b64 v[4:7], v9 offset0:4 offset1:5
	ds_load_2addr_b64 v[0:3], v19 offset0:2 offset1:3
	s_waitcnt lgkmcnt(1)
	v_add_nc_u32_e32 v32, v5, v4
	s_delay_alu instid0(VALU_DEP_1) | instskip(SKIP_1) | instid1(VALU_DEP_1)
	v_add3_u32 v32, v32, v6, v7
	s_waitcnt lgkmcnt(0)
	v_add3_u32 v32, v32, v0, v1
	s_delay_alu instid0(VALU_DEP_1) | instskip(NEXT) | instid1(VALU_DEP_1)
	v_add3_u32 v3, v32, v2, v3
	v_mov_b32_dpp v32, v3 row_shr:1 row_mask:0xf bank_mask:0xf
	s_delay_alu instid0(VALU_DEP_1) | instskip(NEXT) | instid1(VALU_DEP_1)
	v_cndmask_b32_e64 v32, v32, 0, s1
	v_add_nc_u32_e32 v3, v32, v3
	s_delay_alu instid0(VALU_DEP_1) | instskip(NEXT) | instid1(VALU_DEP_1)
	v_mov_b32_dpp v32, v3 row_shr:2 row_mask:0xf bank_mask:0xf
	v_cndmask_b32_e64 v32, 0, v32, s2
	s_delay_alu instid0(VALU_DEP_1) | instskip(NEXT) | instid1(VALU_DEP_1)
	v_add_nc_u32_e32 v3, v3, v32
	v_mov_b32_dpp v32, v3 row_shr:4 row_mask:0xf bank_mask:0xf
	s_delay_alu instid0(VALU_DEP_1) | instskip(NEXT) | instid1(VALU_DEP_1)
	v_cndmask_b32_e64 v32, 0, v32, s3
	v_add_nc_u32_e32 v3, v3, v32
	s_delay_alu instid0(VALU_DEP_1) | instskip(NEXT) | instid1(VALU_DEP_1)
	v_mov_b32_dpp v32, v3 row_shr:8 row_mask:0xf bank_mask:0xf
	v_cndmask_b32_e64 v32, 0, v32, s4
	s_delay_alu instid0(VALU_DEP_1) | instskip(SKIP_3) | instid1(VALU_DEP_1)
	v_add_nc_u32_e32 v3, v3, v32
	ds_swizzle_b32 v32, v3 offset:swizzle(BROADCAST,32,15)
	s_waitcnt lgkmcnt(0)
	v_cndmask_b32_e64 v32, v32, 0, s5
	v_add_nc_u32_e32 v3, v3, v32
	s_and_saveexec_b32 s15, s6
	s_cbranch_execz .LBB48_10
; %bb.9:                                ;   in Loop: Header=BB48_6 Depth=2
	ds_store_b32 v22, v3
.LBB48_10:                              ;   in Loop: Header=BB48_6 Depth=2
	s_or_b32 exec_lo, exec_lo, s15
	s_waitcnt lgkmcnt(0)
	s_barrier
	buffer_gl0_inv
	s_and_saveexec_b32 s15, s7
	s_cbranch_execz .LBB48_12
; %bb.11:                               ;   in Loop: Header=BB48_6 Depth=2
	ds_load_b32 v32, v24
	s_waitcnt lgkmcnt(0)
	v_mov_b32_dpp v33, v32 row_shr:1 row_mask:0xf bank_mask:0xf
	s_delay_alu instid0(VALU_DEP_1) | instskip(NEXT) | instid1(VALU_DEP_1)
	v_cndmask_b32_e64 v33, v33, 0, s12
	v_add_nc_u32_e32 v32, v33, v32
	s_delay_alu instid0(VALU_DEP_1) | instskip(NEXT) | instid1(VALU_DEP_1)
	v_mov_b32_dpp v33, v32 row_shr:2 row_mask:0xf bank_mask:0xf
	v_cndmask_b32_e64 v33, 0, v33, s13
	s_delay_alu instid0(VALU_DEP_1) | instskip(NEXT) | instid1(VALU_DEP_1)
	v_add_nc_u32_e32 v32, v32, v33
	v_mov_b32_dpp v33, v32 row_shr:4 row_mask:0xf bank_mask:0xf
	s_delay_alu instid0(VALU_DEP_1) | instskip(NEXT) | instid1(VALU_DEP_1)
	v_cndmask_b32_e64 v33, 0, v33, s14
	v_add_nc_u32_e32 v32, v32, v33
	ds_store_b32 v24, v32
.LBB48_12:                              ;   in Loop: Header=BB48_6 Depth=2
	s_or_b32 exec_lo, exec_lo, s15
	v_mov_b32_e32 v32, 0
	s_waitcnt lgkmcnt(0)
	s_barrier
	buffer_gl0_inv
	s_and_saveexec_b32 s15, s8
	s_cbranch_execz .LBB48_14
; %bb.13:                               ;   in Loop: Header=BB48_6 Depth=2
	ds_load_b32 v32, v26
.LBB48_14:                              ;   in Loop: Header=BB48_6 Depth=2
	s_or_b32 exec_lo, exec_lo, s15
	s_waitcnt lgkmcnt(0)
	v_add_nc_u32_e32 v3, v32, v3
	s_cmp_gt_u32 s20, 55
	ds_bpermute_b32 v3, v21, v3
	s_waitcnt lgkmcnt(0)
	v_cndmask_b32_e64 v3, v3, v32, s9
	s_delay_alu instid0(VALU_DEP_1) | instskip(NEXT) | instid1(VALU_DEP_1)
	v_cndmask_b32_e64 v3, v3, 0, s10
	v_add_nc_u32_e32 v4, v3, v4
	s_delay_alu instid0(VALU_DEP_1) | instskip(NEXT) | instid1(VALU_DEP_1)
	v_add_nc_u32_e32 v5, v4, v5
	v_add_nc_u32_e32 v6, v5, v6
	s_delay_alu instid0(VALU_DEP_1) | instskip(NEXT) | instid1(VALU_DEP_1)
	v_add_nc_u32_e32 v32, v6, v7
	;; [unrolled: 3-line block ×3, first 2 shown]
	v_add_nc_u32_e32 v1, v0, v2
	ds_store_2addr_b64 v9, v[3:4], v[5:6] offset0:4 offset1:5
	ds_store_2addr_b64 v19, v[32:33], v[0:1] offset0:2 offset1:3
	s_waitcnt lgkmcnt(0)
	s_barrier
	buffer_gl0_inv
	ds_load_b32 v0, v31
	s_waitcnt lgkmcnt(0)
	v_add_nc_u32_e32 v0, v0, v11
	s_cbranch_scc0 .LBB48_5
; %bb.15:                               ;   in Loop: Header=BB48_2 Depth=1
                                        ; implicit-def: $vgpr1_vgpr2
                                        ; implicit-def: $sgpr20_sgpr21
.LBB48_16:                              ;   in Loop: Header=BB48_2 Depth=1
	s_delay_alu instid0(VALU_DEP_1)
	v_lshlrev_b32_e32 v0, 3, v0
	s_barrier
	buffer_gl0_inv
	ds_store_b64 v0, v[17:18]
	s_waitcnt lgkmcnt(0)
	s_barrier
	buffer_gl0_inv
	ds_load_b64 v[1:2], v25
	s_waitcnt lgkmcnt(0)
	s_barrier
	buffer_gl0_inv
	s_and_saveexec_b32 s15, s0
	s_cbranch_execz .LBB48_18
; %bb.17:                               ;   in Loop: Header=BB48_2 Depth=1
	ds_store_2addr_stride64_b32 v29, v30, v30 offset0:16 offset1:20
.LBB48_18:                              ;   in Loop: Header=BB48_2 Depth=1
	s_or_b32 exec_lo, exec_lo, s15
	s_waitcnt lgkmcnt(0)
	s_barrier
	buffer_gl0_inv
	ds_store_b64 v25, v[1:2]
	s_waitcnt lgkmcnt(0)
	s_barrier
	buffer_gl0_inv
	s_and_saveexec_b32 s15, s11
	s_cbranch_execz .LBB48_21
; %bb.19:                               ;   in Loop: Header=BB48_2 Depth=1
	ds_load_b32 v0, v28
	s_waitcnt lgkmcnt(0)
	v_cmp_ne_u32_e32 vcc_lo, v0, v1
	s_and_b32 exec_lo, exec_lo, vcc_lo
	s_cbranch_execz .LBB48_21
; %bb.20:                               ;   in Loop: Header=BB48_2 Depth=1
	v_lshlrev_b32_e32 v0, 2, v1
	ds_store_b32 v0, v12 offset:4096
	ds_load_b32 v0, v28
	s_waitcnt lgkmcnt(0)
	v_lshlrev_b32_e32 v0, 2, v0
	ds_store_b32 v0, v12 offset:5120
.LBB48_21:                              ;   in Loop: Header=BB48_2 Depth=1
	s_or_b32 exec_lo, exec_lo, s15
	s_waitcnt lgkmcnt(0)
	s_barrier
	buffer_gl0_inv
	s_and_saveexec_b32 s15, s10
	s_cbranch_execz .LBB48_23
; %bb.22:                               ;   in Loop: Header=BB48_2 Depth=1
	v_lshlrev_b32_e32 v0, 2, v1
	ds_store_b32 v0, v10 offset:4096
.LBB48_23:                              ;   in Loop: Header=BB48_2 Depth=1
	s_or_b32 exec_lo, exec_lo, s15
	s_waitcnt lgkmcnt(0)
	s_barrier
	buffer_gl0_inv
	s_and_saveexec_b32 s15, s0
	s_cbranch_execz .LBB48_1
; %bb.24:                               ;   in Loop: Header=BB48_2 Depth=1
	ds_load_2addr_stride64_b32 v[3:4], v29 offset0:16 offset1:20
	ds_load_b64 v[5:6], v23
	s_waitcnt lgkmcnt(1)
	v_sub_nc_u32_e32 v0, v4, v3
	s_waitcnt lgkmcnt(0)
	s_delay_alu instid0(VALU_DEP_1)
	v_add_co_u32 v3, vcc_lo, v5, v0
	v_add_co_ci_u32_e32 v4, vcc_lo, 0, v6, vcc_lo
	ds_store_b64 v23, v[3:4]
	s_branch .LBB48_1
.LBB48_25:
	s_and_saveexec_b32 s1, s0
	s_cbranch_execz .LBB48_27
; %bb.26:
	ds_load_b64 v[0:1], v23
	v_mov_b32_e32 v9, 0
	s_delay_alu instid0(VALU_DEP_1) | instskip(NEXT) | instid1(VALU_DEP_1)
	v_lshlrev_b64 v[2:3], 3, v[8:9]
	v_add_co_u32 v2, vcc_lo, s18, v2
	s_delay_alu instid0(VALU_DEP_2)
	v_add_co_ci_u32_e32 v3, vcc_lo, s19, v3, vcc_lo
	s_waitcnt lgkmcnt(0)
	global_store_b64 v[2:3], v[0:1], off
.LBB48_27:
	s_nop 0
	s_sendmsg sendmsg(MSG_DEALLOC_VGPRS)
	s_endpgm
	.section	.rodata,"a",@progbits
	.p2align	6, 0x0
	.amdhsa_kernel _Z6kernelI9histogramILN6hipcub23BlockHistogramAlgorithmE1EEyLj256ELj1ELj256ELj100EEvPKT0_PS4_
		.amdhsa_group_segment_fixed_size 10272
		.amdhsa_private_segment_fixed_size 0
		.amdhsa_kernarg_size 272
		.amdhsa_user_sgpr_count 15
		.amdhsa_user_sgpr_dispatch_ptr 0
		.amdhsa_user_sgpr_queue_ptr 0
		.amdhsa_user_sgpr_kernarg_segment_ptr 1
		.amdhsa_user_sgpr_dispatch_id 0
		.amdhsa_user_sgpr_private_segment_size 0
		.amdhsa_wavefront_size32 1
		.amdhsa_uses_dynamic_stack 0
		.amdhsa_enable_private_segment 0
		.amdhsa_system_sgpr_workgroup_id_x 1
		.amdhsa_system_sgpr_workgroup_id_y 0
		.amdhsa_system_sgpr_workgroup_id_z 0
		.amdhsa_system_sgpr_workgroup_info 0
		.amdhsa_system_vgpr_workitem_id 2
		.amdhsa_next_free_vgpr 34
		.amdhsa_next_free_sgpr 22
		.amdhsa_reserve_vcc 1
		.amdhsa_float_round_mode_32 0
		.amdhsa_float_round_mode_16_64 0
		.amdhsa_float_denorm_mode_32 3
		.amdhsa_float_denorm_mode_16_64 3
		.amdhsa_dx10_clamp 1
		.amdhsa_ieee_mode 1
		.amdhsa_fp16_overflow 0
		.amdhsa_workgroup_processor_mode 1
		.amdhsa_memory_ordered 1
		.amdhsa_forward_progress 0
		.amdhsa_shared_vgpr_count 0
		.amdhsa_exception_fp_ieee_invalid_op 0
		.amdhsa_exception_fp_denorm_src 0
		.amdhsa_exception_fp_ieee_div_zero 0
		.amdhsa_exception_fp_ieee_overflow 0
		.amdhsa_exception_fp_ieee_underflow 0
		.amdhsa_exception_fp_ieee_inexact 0
		.amdhsa_exception_int_div_zero 0
	.end_amdhsa_kernel
	.section	.text._Z6kernelI9histogramILN6hipcub23BlockHistogramAlgorithmE1EEyLj256ELj1ELj256ELj100EEvPKT0_PS4_,"axG",@progbits,_Z6kernelI9histogramILN6hipcub23BlockHistogramAlgorithmE1EEyLj256ELj1ELj256ELj100EEvPKT0_PS4_,comdat
.Lfunc_end48:
	.size	_Z6kernelI9histogramILN6hipcub23BlockHistogramAlgorithmE1EEyLj256ELj1ELj256ELj100EEvPKT0_PS4_, .Lfunc_end48-_Z6kernelI9histogramILN6hipcub23BlockHistogramAlgorithmE1EEyLj256ELj1ELj256ELj100EEvPKT0_PS4_
                                        ; -- End function
	.section	.AMDGPU.csdata,"",@progbits
; Kernel info:
; codeLenInByte = 1852
; NumSgprs: 24
; NumVgprs: 34
; ScratchSize: 0
; MemoryBound: 0
; FloatMode: 240
; IeeeMode: 1
; LDSByteSize: 10272 bytes/workgroup (compile time only)
; SGPRBlocks: 2
; VGPRBlocks: 4
; NumSGPRsForWavesPerEU: 24
; NumVGPRsForWavesPerEU: 34
; Occupancy: 16
; WaveLimiterHint : 0
; COMPUTE_PGM_RSRC2:SCRATCH_EN: 0
; COMPUTE_PGM_RSRC2:USER_SGPR: 15
; COMPUTE_PGM_RSRC2:TRAP_HANDLER: 0
; COMPUTE_PGM_RSRC2:TGID_X_EN: 1
; COMPUTE_PGM_RSRC2:TGID_Y_EN: 0
; COMPUTE_PGM_RSRC2:TGID_Z_EN: 0
; COMPUTE_PGM_RSRC2:TIDIG_COMP_CNT: 2
	.section	.text._Z6kernelI9histogramILN6hipcub23BlockHistogramAlgorithmE1EEyLj256ELj2ELj256ELj100EEvPKT0_PS4_,"axG",@progbits,_Z6kernelI9histogramILN6hipcub23BlockHistogramAlgorithmE1EEyLj256ELj2ELj256ELj100EEvPKT0_PS4_,comdat
	.protected	_Z6kernelI9histogramILN6hipcub23BlockHistogramAlgorithmE1EEyLj256ELj2ELj256ELj100EEvPKT0_PS4_ ; -- Begin function _Z6kernelI9histogramILN6hipcub23BlockHistogramAlgorithmE1EEyLj256ELj2ELj256ELj100EEvPKT0_PS4_
	.globl	_Z6kernelI9histogramILN6hipcub23BlockHistogramAlgorithmE1EEyLj256ELj2ELj256ELj100EEvPKT0_PS4_
	.p2align	8
	.type	_Z6kernelI9histogramILN6hipcub23BlockHistogramAlgorithmE1EEyLj256ELj2ELj256ELj100EEvPKT0_PS4_,@function
_Z6kernelI9histogramILN6hipcub23BlockHistogramAlgorithmE1EEyLj256ELj2ELj256ELj100EEvPKT0_PS4_: ; @_Z6kernelI9histogramILN6hipcub23BlockHistogramAlgorithmE1EEyLj256ELj2ELj256ELj100EEvPKT0_PS4_
; %bb.0:
	v_dual_mov_b32 v9, 0 :: v_dual_and_b32 v8, 0x3ff, v0
	s_clause 0x1
	s_load_b128 s[16:19], s[0:1], 0x0
	s_load_b32 s1, s[0:1], 0x1c
	v_mbcnt_lo_u32_b32 v7, -1, 0
	v_dual_mov_b32 v2, v9 :: v_dual_lshlrev_b32 v19, 1, v8
	v_bfe_u32 v5, v0, 10, 10
	v_bfe_u32 v0, v0, 20, 10
	s_mov_b32 s20, 0
	s_delay_alu instid0(VALU_DEP_3)
	v_lshl_or_b32 v1, s15, 9, v19
	v_or_b32_e32 v11, 31, v8
	s_mov_b32 s21, s20
	v_lshlrev_b32_e32 v6, 1, v7
	s_mov_b32 s22, s20
	v_lshlrev_b64 v[1:2], 3, v[1:2]
	v_cmp_eq_u32_e64 s7, v11, v8
	s_delay_alu instid0(VALU_DEP_3)
	v_dual_mov_b32 v11, s20 :: v_dual_and_b32 v20, 60, v6
	v_mov_b32_e32 v35, 0x200
	s_mov_b32 s23, s20
	v_dual_mov_b32 v13, s22 :: v_dual_and_b32 v10, 1, v7
	s_waitcnt lgkmcnt(0)
	v_add_co_u32 v1, vcc_lo, s16, v1
	v_add_co_ci_u32_e32 v2, vcc_lo, s17, v2, vcc_lo
	s_lshr_b32 s2, s1, 16
	s_and_b32 s1, s1, 0xffff
	v_mad_u32_u24 v0, v0, s2, v5
	global_load_b128 v[1:4], v[1:2], off
	v_cmp_gt_u32_e64 s0, 0x100, v8
	v_or_b32_e32 v22, 64, v20
	v_cmp_gt_u32_e64 s8, 8, v8
	v_mad_u64_u32 v[5:6], null, v0, s1, v[8:9]
	v_and_b32_e32 v0, 15, v7
	v_mov_b32_e32 v14, s23
	v_lshlrev_b32_e32 v6, 3, v8
	v_cmp_eq_u32_e64 s1, 0, v10
	v_and_b32_e32 v10, 16, v7
	v_cmp_eq_u32_e64 s2, 0, v0
	v_lshrrev_b32_e32 v24, 5, v5
	v_add_nc_u32_e32 v5, -1, v7
	v_cmp_lt_u32_e64 s3, 1, v0
	v_cmp_lt_u32_e64 s4, 3, v0
	;; [unrolled: 1-line block ×3, first 2 shown]
	v_cmp_eq_u32_e64 s6, 0, v10
	v_cmp_gt_i32_e32 vcc_lo, 0, v5
	v_lshlrev_b32_e32 v21, 5, v8
	v_cmp_lt_u32_e64 s9, 31, v8
	v_cmp_eq_u32_e64 s10, 0, v7
	v_cmp_eq_u32_e64 s11, 0, v8
	v_cndmask_b32_e32 v0, v5, v7, vcc_lo
	v_and_b32_e32 v5, 7, v7
	v_mad_i32_i24 v26, 0xffffffe4, v8, v21
	v_dual_mov_b32 v12, s21 :: v_dual_add_nc_u32 v23, 32, v21
	s_delay_alu instid0(VALU_DEP_4)
	v_lshlrev_b32_e32 v25, 2, v0
	v_lshrrev_b32_e32 v0, 3, v8
	v_cmp_eq_u32_e64 s13, 0, v5
	v_cmp_lt_u32_e64 s14, 1, v5
	v_mad_u32_u24 v29, v8, 12, v26
	v_cmp_lt_u32_e64 s16, 3, v5
	v_and_b32_e32 v27, 28, v0
	v_and_or_b32 v0, 0x1c0, v19, v7
	v_lshlrev_b32_e32 v5, 2, v8
	v_sub_nc_u32_e32 v31, v29, v6
	v_cmp_ne_u32_e64 s12, 0, v8
	v_add_nc_u32_e32 v30, -4, v27
	v_lshlrev_b32_e32 v32, 3, v0
	v_sub_nc_u32_e32 v0, 0, v5
	v_or_b32_e32 v33, 1, v19
	v_add_nc_u32_e32 v28, 0x2020, v6
	v_add_nc_u32_e32 v34, -8, v31
	s_delay_alu instid0(VALU_DEP_4)
	v_add_nc_u32_e32 v36, v31, v0
	s_branch .LBB49_2
.LBB49_1:                               ;   in Loop: Header=BB49_2 Depth=1
	s_or_b32 exec_lo, exec_lo, s17
	s_add_i32 s20, s20, 1
	s_delay_alu instid0(SALU_CYCLE_1)
	s_cmpk_eq_i32 s20, 0x64
	s_cbranch_scc1 .LBB49_29
.LBB49_2:                               ; =>This Loop Header: Depth=1
                                        ;     Child Loop BB49_6 Depth 2
	s_and_saveexec_b32 s17, s0
	s_cbranch_execz .LBB49_4
; %bb.3:                                ;   in Loop: Header=BB49_2 Depth=1
	v_mov_b32_e32 v10, v9
	ds_store_b64 v28, v[9:10]
.LBB49_4:                               ;   in Loop: Header=BB49_2 Depth=1
	s_or_b32 exec_lo, exec_lo, s17
	s_waitcnt vmcnt(0)
	ds_bpermute_b32 v0, v20, v1
	ds_bpermute_b32 v5, v20, v2
	;; [unrolled: 1-line block ×8, first 2 shown]
	s_mov_b64 s[22:23], 0
	s_waitcnt lgkmcnt(0)
	s_barrier
	buffer_gl0_inv
	s_barrier
	v_cndmask_b32_e64 v0, v6, v0, s1
	v_cndmask_b32_e64 v1, v7, v5, s1
	;; [unrolled: 1-line block ×4, first 2 shown]
	s_branch .LBB49_6
.LBB49_5:                               ;   in Loop: Header=BB49_6 Depth=2
	s_delay_alu instid0(VALU_DEP_2) | instskip(NEXT) | instid1(VALU_DEP_2)
	v_lshlrev_b32_e32 v0, 3, v5
	v_lshlrev_b32_e32 v1, 3, v4
	s_barrier
	buffer_gl0_inv
	ds_store_b64 v0, v[15:16]
	ds_store_b64 v1, v[17:18]
	s_waitcnt lgkmcnt(0)
	s_barrier
	buffer_gl0_inv
	ds_load_2addr_b64 v[0:3], v32 offset1:32
	s_add_u32 s22, s22, 8
	s_addc_u32 s23, s23, 0
	s_waitcnt lgkmcnt(0)
	s_barrier
	s_cbranch_execz .LBB49_18
.LBB49_6:                               ;   Parent Loop BB49_2 Depth=1
                                        ; =>  This Inner Loop Header: Depth=2
	s_delay_alu instid0(VALU_DEP_3)
	v_dual_mov_b32 v16, v1 :: v_dual_mov_b32 v15, v0
	buffer_gl0_inv
	ds_store_2addr_b64 v21, v[11:12], v[13:14] offset0:4 offset1:5
	ds_store_2addr_b64 v23, v[11:12], v[13:14] offset0:2 offset1:3
	s_waitcnt lgkmcnt(0)
	s_barrier
	v_lshrrev_b64 v[4:5], s22, v[15:16]
	buffer_gl0_inv
	; wave barrier
	v_and_b32_e32 v0, 1, v4
	v_lshlrev_b32_e32 v1, 30, v4
	v_lshlrev_b32_e32 v5, 29, v4
	v_lshlrev_b32_e32 v6, 28, v4
	v_lshlrev_b32_e32 v10, 27, v4
	v_add_co_u32 v0, s17, v0, -1
	s_delay_alu instid0(VALU_DEP_1)
	v_cndmask_b32_e64 v7, 0, 1, s17
	v_not_b32_e32 v37, v1
	v_cmp_gt_i32_e64 s17, 0, v1
	v_not_b32_e32 v1, v5
	v_lshlrev_b32_e32 v17, 26, v4
	v_cmp_ne_u32_e32 vcc_lo, 0, v7
	v_ashrrev_i32_e32 v37, 31, v37
	v_lshlrev_b32_e32 v18, 25, v4
	v_ashrrev_i32_e32 v1, 31, v1
	v_lshlrev_b32_e32 v7, 24, v4
	v_xor_b32_e32 v0, vcc_lo, v0
	v_cmp_gt_i32_e32 vcc_lo, 0, v5
	v_not_b32_e32 v5, v6
	v_xor_b32_e32 v37, s17, v37
	v_cmp_gt_i32_e64 s17, 0, v6
	v_and_b32_e32 v0, exec_lo, v0
	v_not_b32_e32 v6, v10
	v_ashrrev_i32_e32 v5, 31, v5
	v_xor_b32_e32 v1, vcc_lo, v1
	v_cmp_gt_i32_e32 vcc_lo, 0, v10
	v_and_b32_e32 v0, v0, v37
	v_not_b32_e32 v10, v17
	v_ashrrev_i32_e32 v6, 31, v6
	v_xor_b32_e32 v5, s17, v5
	v_cmp_gt_i32_e64 s17, 0, v17
	v_and_b32_e32 v0, v0, v1
	v_not_b32_e32 v1, v18
	v_ashrrev_i32_e32 v10, 31, v10
	v_xor_b32_e32 v6, vcc_lo, v6
	v_cmp_gt_i32_e32 vcc_lo, 0, v18
	v_mov_b32_e32 v18, v3
	v_and_b32_e32 v0, v0, v5
	v_not_b32_e32 v5, v7
	v_ashrrev_i32_e32 v1, 31, v1
	v_xor_b32_e32 v10, s17, v10
	v_cmp_gt_i32_e64 s17, 0, v7
	v_and_b32_e32 v0, v0, v6
	v_ashrrev_i32_e32 v5, 31, v5
	v_xor_b32_e32 v1, vcc_lo, v1
	s_delay_alu instid0(VALU_DEP_3) | instskip(NEXT) | instid1(VALU_DEP_3)
	v_dual_mov_b32 v17, v2 :: v_dual_and_b32 v0, v0, v10
	v_xor_b32_e32 v5, s17, v5
	s_delay_alu instid0(VALU_DEP_2) | instskip(SKIP_1) | instid1(VALU_DEP_2)
	v_and_b32_e32 v0, v0, v1
	v_and_b32_e32 v1, 0xff, v4
	;; [unrolled: 1-line block ×3, first 2 shown]
	s_delay_alu instid0(VALU_DEP_2) | instskip(NEXT) | instid1(VALU_DEP_2)
	v_lshl_add_u32 v1, v1, 3, v24
	v_mbcnt_lo_u32_b32 v10, v0, 0
	v_cmp_ne_u32_e64 s17, 0, v0
	s_delay_alu instid0(VALU_DEP_3) | instskip(NEXT) | instid1(VALU_DEP_3)
	v_lshl_add_u32 v37, v1, 2, 32
	v_cmp_eq_u32_e32 vcc_lo, 0, v10
	s_delay_alu instid0(VALU_DEP_3) | instskip(NEXT) | instid1(SALU_CYCLE_1)
	s_and_b32 s21, s17, vcc_lo
	s_and_saveexec_b32 s17, s21
	s_cbranch_execz .LBB49_8
; %bb.7:                                ;   in Loop: Header=BB49_6 Depth=2
	v_bcnt_u32_b32 v0, v0, 0
	ds_store_b32 v37, v0
.LBB49_8:                               ;   in Loop: Header=BB49_6 Depth=2
	s_or_b32 exec_lo, exec_lo, s17
	v_lshrrev_b64 v[0:1], s22, v[17:18]
	; wave barrier
	s_delay_alu instid0(VALU_DEP_1)
	v_and_b32_e32 v2, 1, v0
	v_lshlrev_b32_e32 v3, 30, v0
	v_lshlrev_b32_e32 v4, 29, v0
	;; [unrolled: 1-line block ×4, first 2 shown]
	v_add_co_u32 v2, s17, v2, -1
	s_delay_alu instid0(VALU_DEP_1)
	v_cndmask_b32_e64 v6, 0, 1, s17
	v_not_b32_e32 v40, v3
	v_cmp_gt_i32_e64 s17, 0, v3
	v_not_b32_e32 v3, v4
	v_lshlrev_b32_e32 v38, 26, v0
	v_cmp_ne_u32_e32 vcc_lo, 0, v6
	v_ashrrev_i32_e32 v6, 31, v40
	v_lshlrev_b32_e32 v39, 25, v0
	v_ashrrev_i32_e32 v3, 31, v3
	v_and_b32_e32 v1, 0xff, v0
	v_xor_b32_e32 v2, vcc_lo, v2
	v_cmp_gt_i32_e32 vcc_lo, 0, v4
	v_not_b32_e32 v4, v5
	v_xor_b32_e32 v6, s17, v6
	v_cmp_gt_i32_e64 s17, 0, v5
	v_and_b32_e32 v2, exec_lo, v2
	v_not_b32_e32 v5, v7
	v_ashrrev_i32_e32 v4, 31, v4
	v_xor_b32_e32 v3, vcc_lo, v3
	v_cmp_gt_i32_e32 vcc_lo, 0, v7
	v_and_b32_e32 v2, v2, v6
	v_not_b32_e32 v6, v38
	v_ashrrev_i32_e32 v5, 31, v5
	v_xor_b32_e32 v4, s17, v4
	v_lshlrev_b32_e32 v0, 24, v0
	v_and_b32_e32 v2, v2, v3
	v_cmp_gt_i32_e64 s17, 0, v38
	v_not_b32_e32 v3, v39
	v_ashrrev_i32_e32 v6, 31, v6
	v_xor_b32_e32 v5, vcc_lo, v5
	v_and_b32_e32 v2, v2, v4
	v_cmp_gt_i32_e32 vcc_lo, 0, v39
	v_not_b32_e32 v4, v0
	v_ashrrev_i32_e32 v3, 31, v3
	v_xor_b32_e32 v6, s17, v6
	v_and_b32_e32 v2, v2, v5
	v_lshlrev_b32_e32 v1, 3, v1
	v_cmp_gt_i32_e64 s17, 0, v0
	v_ashrrev_i32_e32 v0, 31, v4
	v_xor_b32_e32 v3, vcc_lo, v3
	v_and_b32_e32 v2, v2, v6
	v_add_lshl_u32 v1, v1, v24, 2
	s_delay_alu instid0(VALU_DEP_4) | instskip(NEXT) | instid1(VALU_DEP_3)
	v_xor_b32_e32 v0, s17, v0
	v_and_b32_e32 v2, v2, v3
	ds_load_b32 v38, v1 offset:32
	v_add_nc_u32_e32 v40, 32, v1
	; wave barrier
	v_and_b32_e32 v0, v2, v0
	s_delay_alu instid0(VALU_DEP_1) | instskip(SKIP_1) | instid1(VALU_DEP_2)
	v_mbcnt_lo_u32_b32 v39, v0, 0
	v_cmp_ne_u32_e64 s17, 0, v0
	v_cmp_eq_u32_e32 vcc_lo, 0, v39
	s_delay_alu instid0(VALU_DEP_2) | instskip(NEXT) | instid1(SALU_CYCLE_1)
	s_and_b32 s21, s17, vcc_lo
	s_and_saveexec_b32 s17, s21
	s_cbranch_execz .LBB49_10
; %bb.9:                                ;   in Loop: Header=BB49_6 Depth=2
	s_waitcnt lgkmcnt(0)
	v_bcnt_u32_b32 v0, v0, v38
	ds_store_b32 v40, v0
.LBB49_10:                              ;   in Loop: Header=BB49_6 Depth=2
	s_or_b32 exec_lo, exec_lo, s17
	; wave barrier
	s_waitcnt lgkmcnt(0)
	s_barrier
	buffer_gl0_inv
	ds_load_2addr_b64 v[4:7], v21 offset0:4 offset1:5
	ds_load_2addr_b64 v[0:3], v23 offset0:2 offset1:3
	s_waitcnt lgkmcnt(1)
	v_add_nc_u32_e32 v41, v5, v4
	s_delay_alu instid0(VALU_DEP_1) | instskip(SKIP_1) | instid1(VALU_DEP_1)
	v_add3_u32 v41, v41, v6, v7
	s_waitcnt lgkmcnt(0)
	v_add3_u32 v41, v41, v0, v1
	s_delay_alu instid0(VALU_DEP_1) | instskip(NEXT) | instid1(VALU_DEP_1)
	v_add3_u32 v3, v41, v2, v3
	v_mov_b32_dpp v41, v3 row_shr:1 row_mask:0xf bank_mask:0xf
	s_delay_alu instid0(VALU_DEP_1) | instskip(NEXT) | instid1(VALU_DEP_1)
	v_cndmask_b32_e64 v41, v41, 0, s2
	v_add_nc_u32_e32 v3, v41, v3
	s_delay_alu instid0(VALU_DEP_1) | instskip(NEXT) | instid1(VALU_DEP_1)
	v_mov_b32_dpp v41, v3 row_shr:2 row_mask:0xf bank_mask:0xf
	v_cndmask_b32_e64 v41, 0, v41, s3
	s_delay_alu instid0(VALU_DEP_1) | instskip(NEXT) | instid1(VALU_DEP_1)
	v_add_nc_u32_e32 v3, v3, v41
	v_mov_b32_dpp v41, v3 row_shr:4 row_mask:0xf bank_mask:0xf
	s_delay_alu instid0(VALU_DEP_1) | instskip(NEXT) | instid1(VALU_DEP_1)
	v_cndmask_b32_e64 v41, 0, v41, s4
	v_add_nc_u32_e32 v3, v3, v41
	s_delay_alu instid0(VALU_DEP_1) | instskip(NEXT) | instid1(VALU_DEP_1)
	v_mov_b32_dpp v41, v3 row_shr:8 row_mask:0xf bank_mask:0xf
	v_cndmask_b32_e64 v41, 0, v41, s5
	s_delay_alu instid0(VALU_DEP_1) | instskip(SKIP_3) | instid1(VALU_DEP_1)
	v_add_nc_u32_e32 v3, v3, v41
	ds_swizzle_b32 v41, v3 offset:swizzle(BROADCAST,32,15)
	s_waitcnt lgkmcnt(0)
	v_cndmask_b32_e64 v41, v41, 0, s6
	v_add_nc_u32_e32 v3, v3, v41
	s_and_saveexec_b32 s17, s7
	s_cbranch_execz .LBB49_12
; %bb.11:                               ;   in Loop: Header=BB49_6 Depth=2
	ds_store_b32 v27, v3
.LBB49_12:                              ;   in Loop: Header=BB49_6 Depth=2
	s_or_b32 exec_lo, exec_lo, s17
	s_waitcnt lgkmcnt(0)
	s_barrier
	buffer_gl0_inv
	s_and_saveexec_b32 s17, s8
	s_cbranch_execz .LBB49_14
; %bb.13:                               ;   in Loop: Header=BB49_6 Depth=2
	ds_load_b32 v41, v26
	s_waitcnt lgkmcnt(0)
	v_mov_b32_dpp v42, v41 row_shr:1 row_mask:0xf bank_mask:0xf
	s_delay_alu instid0(VALU_DEP_1) | instskip(NEXT) | instid1(VALU_DEP_1)
	v_cndmask_b32_e64 v42, v42, 0, s13
	v_add_nc_u32_e32 v41, v42, v41
	s_delay_alu instid0(VALU_DEP_1) | instskip(NEXT) | instid1(VALU_DEP_1)
	v_mov_b32_dpp v42, v41 row_shr:2 row_mask:0xf bank_mask:0xf
	v_cndmask_b32_e64 v42, 0, v42, s14
	s_delay_alu instid0(VALU_DEP_1) | instskip(NEXT) | instid1(VALU_DEP_1)
	v_add_nc_u32_e32 v41, v41, v42
	v_mov_b32_dpp v42, v41 row_shr:4 row_mask:0xf bank_mask:0xf
	s_delay_alu instid0(VALU_DEP_1) | instskip(NEXT) | instid1(VALU_DEP_1)
	v_cndmask_b32_e64 v42, 0, v42, s16
	v_add_nc_u32_e32 v41, v41, v42
	ds_store_b32 v26, v41
.LBB49_14:                              ;   in Loop: Header=BB49_6 Depth=2
	s_or_b32 exec_lo, exec_lo, s17
	v_mov_b32_e32 v41, 0
	s_waitcnt lgkmcnt(0)
	s_barrier
	buffer_gl0_inv
	s_and_saveexec_b32 s17, s9
	s_cbranch_execz .LBB49_16
; %bb.15:                               ;   in Loop: Header=BB49_6 Depth=2
	ds_load_b32 v41, v30
.LBB49_16:                              ;   in Loop: Header=BB49_6 Depth=2
	s_or_b32 exec_lo, exec_lo, s17
	s_waitcnt lgkmcnt(0)
	v_add_nc_u32_e32 v3, v41, v3
	s_cmp_gt_u32 s22, 55
	ds_bpermute_b32 v3, v25, v3
	s_waitcnt lgkmcnt(0)
	v_cndmask_b32_e64 v3, v3, v41, s10
	s_delay_alu instid0(VALU_DEP_1) | instskip(NEXT) | instid1(VALU_DEP_1)
	v_cndmask_b32_e64 v3, v3, 0, s11
	v_add_nc_u32_e32 v4, v3, v4
	s_delay_alu instid0(VALU_DEP_1) | instskip(NEXT) | instid1(VALU_DEP_1)
	v_add_nc_u32_e32 v5, v4, v5
	v_add_nc_u32_e32 v6, v5, v6
	s_delay_alu instid0(VALU_DEP_1) | instskip(NEXT) | instid1(VALU_DEP_1)
	v_add_nc_u32_e32 v41, v6, v7
	;; [unrolled: 3-line block ×3, first 2 shown]
	v_add_nc_u32_e32 v1, v0, v2
	ds_store_2addr_b64 v21, v[3:4], v[5:6] offset0:4 offset1:5
	ds_store_2addr_b64 v23, v[41:42], v[0:1] offset0:2 offset1:3
	s_waitcnt lgkmcnt(0)
	s_barrier
	buffer_gl0_inv
	ds_load_b32 v0, v37
	ds_load_b32 v1, v40
	s_waitcnt lgkmcnt(1)
	v_add_nc_u32_e32 v5, v0, v10
	s_waitcnt lgkmcnt(0)
	v_add3_u32 v4, v39, v38, v1
	s_cbranch_scc0 .LBB49_5
; %bb.17:                               ;   in Loop: Header=BB49_2 Depth=1
                                        ; implicit-def: $vgpr0_vgpr1
                                        ; implicit-def: $sgpr22_sgpr23
.LBB49_18:                              ;   in Loop: Header=BB49_2 Depth=1
	s_delay_alu instid0(VALU_DEP_2) | instskip(NEXT) | instid1(VALU_DEP_2)
	v_lshlrev_b32_e32 v0, 3, v5
	v_lshlrev_b32_e32 v1, 3, v4
	s_barrier
	buffer_gl0_inv
	ds_store_b64 v0, v[15:16]
	ds_store_b64 v1, v[17:18]
	s_waitcnt lgkmcnt(0)
	s_barrier
	buffer_gl0_inv
	ds_load_2addr_b64 v[1:4], v29 offset1:1
	s_waitcnt lgkmcnt(0)
	s_barrier
	buffer_gl0_inv
	s_and_saveexec_b32 s17, s0
	s_cbranch_execz .LBB49_20
; %bb.19:                               ;   in Loop: Header=BB49_2 Depth=1
	ds_store_2addr_stride64_b32 v36, v35, v35 offset0:16 offset1:20
.LBB49_20:                              ;   in Loop: Header=BB49_2 Depth=1
	s_or_b32 exec_lo, exec_lo, s17
	v_lshlrev_b32_e32 v0, 2, v1
	s_mov_b32 s17, exec_lo
	s_waitcnt lgkmcnt(0)
	s_barrier
	buffer_gl0_inv
	ds_store_b64 v31, v[3:4]
	v_cmpx_ne_u32_e64 v1, v3
	s_cbranch_execz .LBB49_22
; %bb.21:                               ;   in Loop: Header=BB49_2 Depth=1
	v_lshlrev_b32_e32 v5, 2, v3
	ds_store_b32 v5, v33 offset:4096
	ds_store_b32 v0, v33 offset:5120
.LBB49_22:                              ;   in Loop: Header=BB49_2 Depth=1
	s_or_b32 exec_lo, exec_lo, s17
	s_waitcnt lgkmcnt(0)
	s_barrier
	buffer_gl0_inv
	s_and_saveexec_b32 s17, s12
	s_cbranch_execz .LBB49_25
; %bb.23:                               ;   in Loop: Header=BB49_2 Depth=1
	ds_load_b32 v5, v34
	s_waitcnt lgkmcnt(0)
	v_cmp_ne_u32_e32 vcc_lo, v5, v1
	s_and_b32 exec_lo, exec_lo, vcc_lo
	s_cbranch_execz .LBB49_25
; %bb.24:                               ;   in Loop: Header=BB49_2 Depth=1
	ds_store_b32 v0, v19 offset:4096
	ds_load_b32 v5, v34
	s_waitcnt lgkmcnt(0)
	v_lshlrev_b32_e32 v5, 2, v5
	ds_store_b32 v5, v19 offset:5120
.LBB49_25:                              ;   in Loop: Header=BB49_2 Depth=1
	s_or_b32 exec_lo, exec_lo, s17
	s_waitcnt lgkmcnt(0)
	s_barrier
	buffer_gl0_inv
	s_and_saveexec_b32 s17, s11
	s_cbranch_execz .LBB49_27
; %bb.26:                               ;   in Loop: Header=BB49_2 Depth=1
	ds_store_b32 v0, v9 offset:4096
.LBB49_27:                              ;   in Loop: Header=BB49_2 Depth=1
	s_or_b32 exec_lo, exec_lo, s17
	s_waitcnt lgkmcnt(0)
	s_barrier
	buffer_gl0_inv
	s_and_saveexec_b32 s17, s0
	s_cbranch_execz .LBB49_1
; %bb.28:                               ;   in Loop: Header=BB49_2 Depth=1
	ds_load_2addr_stride64_b32 v[5:6], v36 offset0:16 offset1:20
	ds_load_b64 v[15:16], v28
	s_waitcnt lgkmcnt(1)
	v_sub_nc_u32_e32 v0, v6, v5
	s_waitcnt lgkmcnt(0)
	s_delay_alu instid0(VALU_DEP_1)
	v_add_co_u32 v5, vcc_lo, v15, v0
	v_add_co_ci_u32_e32 v6, vcc_lo, 0, v16, vcc_lo
	ds_store_b64 v28, v[5:6]
	s_branch .LBB49_1
.LBB49_29:
	s_and_saveexec_b32 s1, s0
	s_cbranch_execz .LBB49_31
; %bb.30:
	ds_load_b64 v[0:1], v28
	v_lshl_or_b32 v2, s15, 8, v8
	v_mov_b32_e32 v3, 0
	s_delay_alu instid0(VALU_DEP_1) | instskip(NEXT) | instid1(VALU_DEP_1)
	v_lshlrev_b64 v[2:3], 3, v[2:3]
	v_add_co_u32 v2, vcc_lo, s18, v2
	s_delay_alu instid0(VALU_DEP_2)
	v_add_co_ci_u32_e32 v3, vcc_lo, s19, v3, vcc_lo
	s_waitcnt lgkmcnt(0)
	global_store_b64 v[2:3], v[0:1], off
.LBB49_31:
	s_nop 0
	s_sendmsg sendmsg(MSG_DEALLOC_VGPRS)
	s_endpgm
	.section	.rodata,"a",@progbits
	.p2align	6, 0x0
	.amdhsa_kernel _Z6kernelI9histogramILN6hipcub23BlockHistogramAlgorithmE1EEyLj256ELj2ELj256ELj100EEvPKT0_PS4_
		.amdhsa_group_segment_fixed_size 10272
		.amdhsa_private_segment_fixed_size 0
		.amdhsa_kernarg_size 272
		.amdhsa_user_sgpr_count 15
		.amdhsa_user_sgpr_dispatch_ptr 0
		.amdhsa_user_sgpr_queue_ptr 0
		.amdhsa_user_sgpr_kernarg_segment_ptr 1
		.amdhsa_user_sgpr_dispatch_id 0
		.amdhsa_user_sgpr_private_segment_size 0
		.amdhsa_wavefront_size32 1
		.amdhsa_uses_dynamic_stack 0
		.amdhsa_enable_private_segment 0
		.amdhsa_system_sgpr_workgroup_id_x 1
		.amdhsa_system_sgpr_workgroup_id_y 0
		.amdhsa_system_sgpr_workgroup_id_z 0
		.amdhsa_system_sgpr_workgroup_info 0
		.amdhsa_system_vgpr_workitem_id 2
		.amdhsa_next_free_vgpr 43
		.amdhsa_next_free_sgpr 24
		.amdhsa_reserve_vcc 1
		.amdhsa_float_round_mode_32 0
		.amdhsa_float_round_mode_16_64 0
		.amdhsa_float_denorm_mode_32 3
		.amdhsa_float_denorm_mode_16_64 3
		.amdhsa_dx10_clamp 1
		.amdhsa_ieee_mode 1
		.amdhsa_fp16_overflow 0
		.amdhsa_workgroup_processor_mode 1
		.amdhsa_memory_ordered 1
		.amdhsa_forward_progress 0
		.amdhsa_shared_vgpr_count 0
		.amdhsa_exception_fp_ieee_invalid_op 0
		.amdhsa_exception_fp_denorm_src 0
		.amdhsa_exception_fp_ieee_div_zero 0
		.amdhsa_exception_fp_ieee_overflow 0
		.amdhsa_exception_fp_ieee_underflow 0
		.amdhsa_exception_fp_ieee_inexact 0
		.amdhsa_exception_int_div_zero 0
	.end_amdhsa_kernel
	.section	.text._Z6kernelI9histogramILN6hipcub23BlockHistogramAlgorithmE1EEyLj256ELj2ELj256ELj100EEvPKT0_PS4_,"axG",@progbits,_Z6kernelI9histogramILN6hipcub23BlockHistogramAlgorithmE1EEyLj256ELj2ELj256ELj100EEvPKT0_PS4_,comdat
.Lfunc_end49:
	.size	_Z6kernelI9histogramILN6hipcub23BlockHistogramAlgorithmE1EEyLj256ELj2ELj256ELj100EEvPKT0_PS4_, .Lfunc_end49-_Z6kernelI9histogramILN6hipcub23BlockHistogramAlgorithmE1EEyLj256ELj2ELj256ELj100EEvPKT0_PS4_
                                        ; -- End function
	.section	.AMDGPU.csdata,"",@progbits
; Kernel info:
; codeLenInByte = 2432
; NumSgprs: 26
; NumVgprs: 43
; ScratchSize: 0
; MemoryBound: 0
; FloatMode: 240
; IeeeMode: 1
; LDSByteSize: 10272 bytes/workgroup (compile time only)
; SGPRBlocks: 3
; VGPRBlocks: 5
; NumSGPRsForWavesPerEU: 26
; NumVGPRsForWavesPerEU: 43
; Occupancy: 16
; WaveLimiterHint : 0
; COMPUTE_PGM_RSRC2:SCRATCH_EN: 0
; COMPUTE_PGM_RSRC2:USER_SGPR: 15
; COMPUTE_PGM_RSRC2:TRAP_HANDLER: 0
; COMPUTE_PGM_RSRC2:TGID_X_EN: 1
; COMPUTE_PGM_RSRC2:TGID_Y_EN: 0
; COMPUTE_PGM_RSRC2:TGID_Z_EN: 0
; COMPUTE_PGM_RSRC2:TIDIG_COMP_CNT: 2
	.section	.text._Z6kernelI9histogramILN6hipcub23BlockHistogramAlgorithmE1EEyLj256ELj3ELj256ELj100EEvPKT0_PS4_,"axG",@progbits,_Z6kernelI9histogramILN6hipcub23BlockHistogramAlgorithmE1EEyLj256ELj3ELj256ELj100EEvPKT0_PS4_,comdat
	.protected	_Z6kernelI9histogramILN6hipcub23BlockHistogramAlgorithmE1EEyLj256ELj3ELj256ELj100EEvPKT0_PS4_ ; -- Begin function _Z6kernelI9histogramILN6hipcub23BlockHistogramAlgorithmE1EEyLj256ELj3ELj256ELj100EEvPKT0_PS4_
	.globl	_Z6kernelI9histogramILN6hipcub23BlockHistogramAlgorithmE1EEyLj256ELj3ELj256ELj100EEvPKT0_PS4_
	.p2align	8
	.type	_Z6kernelI9histogramILN6hipcub23BlockHistogramAlgorithmE1EEyLj256ELj3ELj256ELj100EEvPKT0_PS4_,@function
_Z6kernelI9histogramILN6hipcub23BlockHistogramAlgorithmE1EEyLj256ELj3ELj256ELj100EEvPKT0_PS4_: ; @_Z6kernelI9histogramILN6hipcub23BlockHistogramAlgorithmE1EEyLj256ELj3ELj256ELj100EEvPKT0_PS4_
; %bb.0:
	v_mov_b32_e32 v9, 0
	v_and_b32_e32 v7, 0x3ff, v0
	s_lshl_b32 s2, s15, 8
	s_clause 0x1
	s_load_b128 s[16:19], s[0:1], 0x0
	s_load_b32 s0, s[0:1], 0x1c
	v_mov_b32_e32 v2, v9
	v_or_b32_e32 v8, s2, v7
	v_lshlrev_b32_e32 v21, 5, v7
	v_bfe_u32 v10, v0, 10, 10
	v_bfe_u32 v0, v0, 20, 10
	v_lshrrev_b32_e32 v12, 5, v7
	v_lshl_add_u32 v1, v8, 1, v8
	v_add_nc_u32_e32 v24, 32, v21
	v_mov_b32_e32 v4, v9
	v_mov_b32_e32 v6, v9
	v_mul_u32_u24_e32 v13, 0x60, v12
	v_add_nc_u32_e32 v5, 2, v1
	v_add_nc_u32_e32 v3, 1, v1
	v_lshlrev_b64 v[1:2], 3, v[1:2]
	v_mbcnt_lo_u32_b32 v14, -1, 0
	v_lshlrev_b32_e32 v27, 2, v12
	v_lshlrev_b64 v[5:6], 3, v[5:6]
	v_lshlrev_b64 v[3:4], 3, v[3:4]
	v_cmp_gt_u32_e64 s7, 8, v7
	s_waitcnt lgkmcnt(0)
	v_add_co_u32 v1, vcc_lo, s16, v1
	v_add_co_ci_u32_e32 v2, vcc_lo, s17, v2, vcc_lo
	s_delay_alu instid0(VALU_DEP_4)
	v_add_co_u32 v3, vcc_lo, s16, v3
	v_add_co_ci_u32_e32 v4, vcc_lo, s17, v4, vcc_lo
	v_add_co_u32 v5, vcc_lo, s16, v5
	v_add_co_ci_u32_e32 v6, vcc_lo, s17, v6, vcc_lo
	s_clause 0x2
	global_load_b64 v[1:2], v[1:2], off
	global_load_b64 v[3:4], v[3:4], off
	;; [unrolled: 1-line block ×3, first 2 shown]
	s_lshr_b32 s1, s0, 16
	s_and_b32 s0, s0, 0xffff
	v_mad_u32_u24 v0, v0, s1, v10
	s_mov_b32 s16, 0
	v_cmp_eq_u32_e64 s9, 0, v14
	s_mov_b32 s20, s16
	s_mov_b32 s21, s16
	v_mad_u64_u32 v[10:11], null, v0, s0, v[7:8]
	v_or_b32_e32 v0, v14, v13
	s_mov_b32 s17, s16
	v_and_b32_e32 v11, 15, v14
	v_cmp_gt_u32_e64 s0, 0x100, v7
	v_cmp_lt_u32_e64 s8, 31, v7
	v_dual_mov_b32 v38, 0x300 :: v_dual_lshlrev_b32 v23, 3, v0
	v_lshrrev_b32_e32 v25, 5, v10
	v_add_nc_u32_e32 v10, -1, v14
	v_and_b32_e32 v0, 0xe0, v7
	v_cmp_eq_u32_e64 s10, 0, v7
	v_cmp_ne_u32_e64 s11, 0, v7
	v_add_nc_u32_e32 v31, -4, v27
	v_cmp_gt_i32_e32 vcc_lo, 0, v10
	v_lshlrev_b32_e32 v15, 3, v13
	v_and_b32_e32 v13, 16, v14
	v_mul_u32_u24_e32 v33, 3, v7
	v_mad_u32_u24 v35, v7, 3, 1
	v_cndmask_b32_e32 v10, v10, v14, vcc_lo
	v_mad_u32_u24 v22, v14, 24, v15
	v_or_b32_e32 v15, 31, v0
	v_mul_u32_u24_e32 v0, 3, v0
	v_cmp_eq_u32_e64 s5, 0, v13
	v_lshlrev_b32_e32 v26, 2, v10
	v_and_b32_e32 v10, 7, v14
	v_cmp_eq_u32_e64 s6, v15, v7
	v_or_b32_e32 v0, v14, v0
	v_dual_mov_b32 v13, s20 :: v_dual_mov_b32 v14, s21
	v_cmp_eq_u32_e64 s1, 0, v11
	v_cmp_lt_u32_e64 s2, 1, v11
	v_cmp_lt_u32_e64 s3, 3, v11
	;; [unrolled: 1-line block ×3, first 2 shown]
	v_dual_mov_b32 v11, s16 :: v_dual_mov_b32 v12, s17
	v_mad_i32_i24 v28, 0xffffffe4, v7, v21
	v_cmp_eq_u32_e64 s12, 0, v10
	v_cmp_lt_u32_e64 s13, 1, v10
	v_cmp_lt_u32_e64 s14, 3, v10
	v_lshlrev_b32_e32 v10, 4, v7
	v_mad_u32_u24 v30, v7, 20, v28
	v_lshlrev_b32_e32 v32, 3, v0
	v_lshlrev_b32_e32 v0, 2, v7
	v_mad_u32_u24 v36, v7, 3, 2
	v_lshl_add_u32 v29, v7, 3, 0x2020
	v_sub_nc_u32_e32 v34, v30, v10
	s_delay_alu instid0(VALU_DEP_4) | instskip(NEXT) | instid1(VALU_DEP_2)
	v_sub_nc_u32_e32 v0, 0, v0
	v_add_nc_u32_e32 v37, -8, v34
	s_delay_alu instid0(VALU_DEP_2)
	v_add_nc_u32_e32 v39, v34, v0
	s_branch .LBB50_2
.LBB50_1:                               ;   in Loop: Header=BB50_2 Depth=1
	s_or_b32 exec_lo, exec_lo, s15
	s_add_i32 s16, s16, 1
	s_delay_alu instid0(SALU_CYCLE_1)
	s_cmpk_eq_i32 s16, 0x64
	s_cbranch_scc1 .LBB50_33
.LBB50_2:                               ; =>This Loop Header: Depth=1
                                        ;     Child Loop BB50_6 Depth 2
	s_and_saveexec_b32 s15, s0
	s_cbranch_execz .LBB50_4
; %bb.3:                                ;   in Loop: Header=BB50_2 Depth=1
	v_mov_b32_e32 v10, v9
	ds_store_b64 v29, v[9:10]
.LBB50_4:                               ;   in Loop: Header=BB50_2 Depth=1
	s_or_b32 exec_lo, exec_lo, s15
	s_waitcnt vmcnt(0) lgkmcnt(0)
	s_barrier
	buffer_gl0_inv
	ds_store_2addr_b64 v22, v[1:2], v[3:4] offset1:1
	ds_store_b64 v22, v[5:6] offset:16
	; wave barrier
	ds_load_2addr_b64 v[0:3], v23 offset1:32
	ds_load_b64 v[4:5], v23 offset:512
	s_mov_b64 s[20:21], 0
	s_waitcnt lgkmcnt(0)
	s_barrier
	buffer_gl0_inv
	; wave barrier
	s_barrier
	s_branch .LBB50_6
.LBB50_5:                               ;   in Loop: Header=BB50_6 Depth=2
	v_lshlrev_b32_e32 v0, 3, v10
	v_lshlrev_b32_e32 v1, 3, v7
	s_delay_alu instid0(VALU_DEP_3)
	v_lshlrev_b32_e32 v2, 3, v6
	s_barrier
	buffer_gl0_inv
	ds_store_b64 v0, v[15:16]
	ds_store_b64 v1, v[19:20]
	;; [unrolled: 1-line block ×3, first 2 shown]
	s_waitcnt lgkmcnt(0)
	s_barrier
	buffer_gl0_inv
	ds_load_2addr_b64 v[0:3], v32 offset1:32
	ds_load_b64 v[4:5], v32 offset:512
	s_add_u32 s20, s20, 8
	s_addc_u32 s21, s21, 0
	s_waitcnt lgkmcnt(0)
	s_barrier
	s_cbranch_execz .LBB50_20
.LBB50_6:                               ;   Parent Loop BB50_2 Depth=1
                                        ; =>  This Inner Loop Header: Depth=2
	v_dual_mov_b32 v16, v1 :: v_dual_mov_b32 v15, v0
	buffer_gl0_inv
	ds_store_2addr_b64 v21, v[11:12], v[13:14] offset0:4 offset1:5
	ds_store_2addr_b64 v24, v[11:12], v[13:14] offset0:2 offset1:3
	s_waitcnt lgkmcnt(0)
	s_barrier
	v_lshrrev_b64 v[6:7], s20, v[15:16]
	buffer_gl0_inv
	; wave barrier
	v_and_b32_e32 v0, 1, v6
	v_lshlrev_b32_e32 v1, 30, v6
	v_lshlrev_b32_e32 v7, 29, v6
	;; [unrolled: 1-line block ×4, first 2 shown]
	v_add_co_u32 v0, s15, v0, -1
	s_delay_alu instid0(VALU_DEP_1)
	v_cndmask_b32_e64 v17, 0, 1, s15
	v_not_b32_e32 v40, v1
	v_cmp_gt_i32_e64 s15, 0, v1
	v_not_b32_e32 v1, v7
	v_lshlrev_b32_e32 v19, 26, v6
	v_cmp_ne_u32_e32 vcc_lo, 0, v17
	v_ashrrev_i32_e32 v40, 31, v40
	v_lshlrev_b32_e32 v20, 25, v6
	v_ashrrev_i32_e32 v1, 31, v1
	v_lshlrev_b32_e32 v17, 24, v6
	v_xor_b32_e32 v0, vcc_lo, v0
	v_cmp_gt_i32_e32 vcc_lo, 0, v7
	v_not_b32_e32 v7, v10
	v_xor_b32_e32 v40, s15, v40
	v_cmp_gt_i32_e64 s15, 0, v10
	v_and_b32_e32 v0, exec_lo, v0
	v_not_b32_e32 v10, v18
	v_ashrrev_i32_e32 v7, 31, v7
	v_xor_b32_e32 v1, vcc_lo, v1
	v_cmp_gt_i32_e32 vcc_lo, 0, v18
	v_and_b32_e32 v0, v0, v40
	v_not_b32_e32 v18, v19
	v_ashrrev_i32_e32 v10, 31, v10
	v_xor_b32_e32 v7, s15, v7
	v_cmp_gt_i32_e64 s15, 0, v19
	v_and_b32_e32 v0, v0, v1
	v_not_b32_e32 v1, v20
	v_ashrrev_i32_e32 v18, 31, v18
	v_xor_b32_e32 v10, vcc_lo, v10
	v_cmp_gt_i32_e32 vcc_lo, 0, v20
	v_and_b32_e32 v0, v0, v7
	v_not_b32_e32 v7, v17
	v_ashrrev_i32_e32 v1, 31, v1
	v_xor_b32_e32 v18, s15, v18
	v_cmp_gt_i32_e64 s15, 0, v17
	v_and_b32_e32 v0, v0, v10
	v_ashrrev_i32_e32 v7, 31, v7
	v_xor_b32_e32 v1, vcc_lo, v1
	v_dual_mov_b32 v20, v3 :: v_dual_mov_b32 v19, v2
	s_delay_alu instid0(VALU_DEP_4) | instskip(NEXT) | instid1(VALU_DEP_4)
	v_and_b32_e32 v0, v0, v18
	v_xor_b32_e32 v7, s15, v7
	v_dual_mov_b32 v18, v5 :: v_dual_mov_b32 v17, v4
	s_delay_alu instid0(VALU_DEP_3) | instskip(SKIP_1) | instid1(VALU_DEP_2)
	v_and_b32_e32 v0, v0, v1
	v_and_b32_e32 v1, 0xff, v6
	;; [unrolled: 1-line block ×3, first 2 shown]
	s_delay_alu instid0(VALU_DEP_2) | instskip(NEXT) | instid1(VALU_DEP_2)
	v_lshl_add_u32 v1, v1, 3, v25
	v_mbcnt_lo_u32_b32 v10, v0, 0
	v_cmp_ne_u32_e64 s15, 0, v0
	s_delay_alu instid0(VALU_DEP_3) | instskip(NEXT) | instid1(VALU_DEP_3)
	v_lshl_add_u32 v40, v1, 2, 32
	v_cmp_eq_u32_e32 vcc_lo, 0, v10
	s_delay_alu instid0(VALU_DEP_3) | instskip(NEXT) | instid1(SALU_CYCLE_1)
	s_and_b32 s17, s15, vcc_lo
	s_and_saveexec_b32 s15, s17
	s_cbranch_execz .LBB50_8
; %bb.7:                                ;   in Loop: Header=BB50_6 Depth=2
	v_bcnt_u32_b32 v0, v0, 0
	ds_store_b32 v40, v0
.LBB50_8:                               ;   in Loop: Header=BB50_6 Depth=2
	s_or_b32 exec_lo, exec_lo, s15
	v_lshrrev_b64 v[0:1], s20, v[19:20]
	; wave barrier
	s_delay_alu instid0(VALU_DEP_1)
	v_and_b32_e32 v2, 1, v0
	v_lshlrev_b32_e32 v3, 30, v0
	v_lshlrev_b32_e32 v4, 29, v0
	;; [unrolled: 1-line block ×4, first 2 shown]
	v_add_co_u32 v2, s15, v2, -1
	s_delay_alu instid0(VALU_DEP_1)
	v_cndmask_b32_e64 v6, 0, 1, s15
	v_not_b32_e32 v43, v3
	v_cmp_gt_i32_e64 s15, 0, v3
	v_not_b32_e32 v3, v4
	v_lshlrev_b32_e32 v41, 26, v0
	v_cmp_ne_u32_e32 vcc_lo, 0, v6
	v_ashrrev_i32_e32 v6, 31, v43
	v_lshlrev_b32_e32 v42, 25, v0
	v_ashrrev_i32_e32 v3, 31, v3
	v_and_b32_e32 v1, 0xff, v0
	v_xor_b32_e32 v2, vcc_lo, v2
	v_cmp_gt_i32_e32 vcc_lo, 0, v4
	v_not_b32_e32 v4, v5
	v_xor_b32_e32 v6, s15, v6
	v_cmp_gt_i32_e64 s15, 0, v5
	v_and_b32_e32 v2, exec_lo, v2
	v_not_b32_e32 v5, v7
	v_ashrrev_i32_e32 v4, 31, v4
	v_xor_b32_e32 v3, vcc_lo, v3
	v_cmp_gt_i32_e32 vcc_lo, 0, v7
	v_and_b32_e32 v2, v2, v6
	v_not_b32_e32 v6, v41
	v_ashrrev_i32_e32 v5, 31, v5
	v_xor_b32_e32 v4, s15, v4
	v_lshlrev_b32_e32 v0, 24, v0
	v_and_b32_e32 v2, v2, v3
	v_cmp_gt_i32_e64 s15, 0, v41
	v_not_b32_e32 v3, v42
	v_ashrrev_i32_e32 v6, 31, v6
	v_xor_b32_e32 v5, vcc_lo, v5
	v_and_b32_e32 v2, v2, v4
	v_cmp_gt_i32_e32 vcc_lo, 0, v42
	v_not_b32_e32 v4, v0
	v_ashrrev_i32_e32 v3, 31, v3
	v_xor_b32_e32 v6, s15, v6
	v_and_b32_e32 v2, v2, v5
	v_lshlrev_b32_e32 v1, 3, v1
	v_cmp_gt_i32_e64 s15, 0, v0
	v_ashrrev_i32_e32 v0, 31, v4
	v_xor_b32_e32 v3, vcc_lo, v3
	v_and_b32_e32 v2, v2, v6
	v_add_lshl_u32 v1, v1, v25, 2
	s_delay_alu instid0(VALU_DEP_4) | instskip(NEXT) | instid1(VALU_DEP_3)
	v_xor_b32_e32 v0, s15, v0
	v_and_b32_e32 v2, v2, v3
	ds_load_b32 v41, v1 offset:32
	v_add_nc_u32_e32 v43, 32, v1
	; wave barrier
	v_and_b32_e32 v0, v2, v0
	s_delay_alu instid0(VALU_DEP_1) | instskip(SKIP_1) | instid1(VALU_DEP_2)
	v_mbcnt_lo_u32_b32 v42, v0, 0
	v_cmp_ne_u32_e64 s15, 0, v0
	v_cmp_eq_u32_e32 vcc_lo, 0, v42
	s_delay_alu instid0(VALU_DEP_2) | instskip(NEXT) | instid1(SALU_CYCLE_1)
	s_and_b32 s17, s15, vcc_lo
	s_and_saveexec_b32 s15, s17
	s_cbranch_execz .LBB50_10
; %bb.9:                                ;   in Loop: Header=BB50_6 Depth=2
	s_waitcnt lgkmcnt(0)
	v_bcnt_u32_b32 v0, v0, v41
	ds_store_b32 v43, v0
.LBB50_10:                              ;   in Loop: Header=BB50_6 Depth=2
	s_or_b32 exec_lo, exec_lo, s15
	v_lshrrev_b64 v[0:1], s20, v[17:18]
	; wave barrier
	s_delay_alu instid0(VALU_DEP_1)
	v_and_b32_e32 v2, 1, v0
	v_lshlrev_b32_e32 v3, 30, v0
	v_lshlrev_b32_e32 v4, 29, v0
	;; [unrolled: 1-line block ×4, first 2 shown]
	v_add_co_u32 v2, s15, v2, -1
	s_delay_alu instid0(VALU_DEP_1)
	v_cndmask_b32_e64 v6, 0, 1, s15
	v_not_b32_e32 v46, v3
	v_cmp_gt_i32_e64 s15, 0, v3
	v_not_b32_e32 v3, v4
	v_lshlrev_b32_e32 v44, 26, v0
	v_cmp_ne_u32_e32 vcc_lo, 0, v6
	v_ashrrev_i32_e32 v6, 31, v46
	v_lshlrev_b32_e32 v45, 25, v0
	v_ashrrev_i32_e32 v3, 31, v3
	v_and_b32_e32 v1, 0xff, v0
	v_xor_b32_e32 v2, vcc_lo, v2
	v_cmp_gt_i32_e32 vcc_lo, 0, v4
	v_not_b32_e32 v4, v5
	v_xor_b32_e32 v6, s15, v6
	v_cmp_gt_i32_e64 s15, 0, v5
	v_and_b32_e32 v2, exec_lo, v2
	v_not_b32_e32 v5, v7
	v_ashrrev_i32_e32 v4, 31, v4
	v_xor_b32_e32 v3, vcc_lo, v3
	v_cmp_gt_i32_e32 vcc_lo, 0, v7
	v_and_b32_e32 v2, v2, v6
	v_not_b32_e32 v6, v44
	v_ashrrev_i32_e32 v5, 31, v5
	v_xor_b32_e32 v4, s15, v4
	v_lshlrev_b32_e32 v0, 24, v0
	v_and_b32_e32 v2, v2, v3
	v_cmp_gt_i32_e64 s15, 0, v44
	v_not_b32_e32 v3, v45
	v_ashrrev_i32_e32 v6, 31, v6
	v_xor_b32_e32 v5, vcc_lo, v5
	v_and_b32_e32 v2, v2, v4
	v_cmp_gt_i32_e32 vcc_lo, 0, v45
	v_not_b32_e32 v4, v0
	v_ashrrev_i32_e32 v3, 31, v3
	v_xor_b32_e32 v6, s15, v6
	v_and_b32_e32 v2, v2, v5
	v_lshlrev_b32_e32 v1, 3, v1
	v_cmp_gt_i32_e64 s15, 0, v0
	v_ashrrev_i32_e32 v0, 31, v4
	v_xor_b32_e32 v3, vcc_lo, v3
	v_and_b32_e32 v2, v2, v6
	v_add_lshl_u32 v1, v1, v25, 2
	s_delay_alu instid0(VALU_DEP_4) | instskip(NEXT) | instid1(VALU_DEP_3)
	v_xor_b32_e32 v0, s15, v0
	v_and_b32_e32 v2, v2, v3
	ds_load_b32 v44, v1 offset:32
	v_add_nc_u32_e32 v46, 32, v1
	; wave barrier
	v_and_b32_e32 v0, v2, v0
	s_delay_alu instid0(VALU_DEP_1) | instskip(SKIP_1) | instid1(VALU_DEP_2)
	v_mbcnt_lo_u32_b32 v45, v0, 0
	v_cmp_ne_u32_e64 s15, 0, v0
	v_cmp_eq_u32_e32 vcc_lo, 0, v45
	s_delay_alu instid0(VALU_DEP_2) | instskip(NEXT) | instid1(SALU_CYCLE_1)
	s_and_b32 s17, s15, vcc_lo
	s_and_saveexec_b32 s15, s17
	s_cbranch_execz .LBB50_12
; %bb.11:                               ;   in Loop: Header=BB50_6 Depth=2
	s_waitcnt lgkmcnt(0)
	v_bcnt_u32_b32 v0, v0, v44
	ds_store_b32 v46, v0
.LBB50_12:                              ;   in Loop: Header=BB50_6 Depth=2
	s_or_b32 exec_lo, exec_lo, s15
	; wave barrier
	s_waitcnt lgkmcnt(0)
	s_barrier
	buffer_gl0_inv
	ds_load_2addr_b64 v[4:7], v21 offset0:4 offset1:5
	ds_load_2addr_b64 v[0:3], v24 offset0:2 offset1:3
	s_waitcnt lgkmcnt(1)
	v_add_nc_u32_e32 v47, v5, v4
	s_delay_alu instid0(VALU_DEP_1) | instskip(SKIP_1) | instid1(VALU_DEP_1)
	v_add3_u32 v47, v47, v6, v7
	s_waitcnt lgkmcnt(0)
	v_add3_u32 v47, v47, v0, v1
	s_delay_alu instid0(VALU_DEP_1) | instskip(NEXT) | instid1(VALU_DEP_1)
	v_add3_u32 v3, v47, v2, v3
	v_mov_b32_dpp v47, v3 row_shr:1 row_mask:0xf bank_mask:0xf
	s_delay_alu instid0(VALU_DEP_1) | instskip(NEXT) | instid1(VALU_DEP_1)
	v_cndmask_b32_e64 v47, v47, 0, s1
	v_add_nc_u32_e32 v3, v47, v3
	s_delay_alu instid0(VALU_DEP_1) | instskip(NEXT) | instid1(VALU_DEP_1)
	v_mov_b32_dpp v47, v3 row_shr:2 row_mask:0xf bank_mask:0xf
	v_cndmask_b32_e64 v47, 0, v47, s2
	s_delay_alu instid0(VALU_DEP_1) | instskip(NEXT) | instid1(VALU_DEP_1)
	v_add_nc_u32_e32 v3, v3, v47
	v_mov_b32_dpp v47, v3 row_shr:4 row_mask:0xf bank_mask:0xf
	s_delay_alu instid0(VALU_DEP_1) | instskip(NEXT) | instid1(VALU_DEP_1)
	v_cndmask_b32_e64 v47, 0, v47, s3
	v_add_nc_u32_e32 v3, v3, v47
	s_delay_alu instid0(VALU_DEP_1) | instskip(NEXT) | instid1(VALU_DEP_1)
	v_mov_b32_dpp v47, v3 row_shr:8 row_mask:0xf bank_mask:0xf
	v_cndmask_b32_e64 v47, 0, v47, s4
	s_delay_alu instid0(VALU_DEP_1) | instskip(SKIP_3) | instid1(VALU_DEP_1)
	v_add_nc_u32_e32 v3, v3, v47
	ds_swizzle_b32 v47, v3 offset:swizzle(BROADCAST,32,15)
	s_waitcnt lgkmcnt(0)
	v_cndmask_b32_e64 v47, v47, 0, s5
	v_add_nc_u32_e32 v3, v3, v47
	s_and_saveexec_b32 s15, s6
	s_cbranch_execz .LBB50_14
; %bb.13:                               ;   in Loop: Header=BB50_6 Depth=2
	ds_store_b32 v27, v3
.LBB50_14:                              ;   in Loop: Header=BB50_6 Depth=2
	s_or_b32 exec_lo, exec_lo, s15
	s_waitcnt lgkmcnt(0)
	s_barrier
	buffer_gl0_inv
	s_and_saveexec_b32 s15, s7
	s_cbranch_execz .LBB50_16
; %bb.15:                               ;   in Loop: Header=BB50_6 Depth=2
	ds_load_b32 v47, v28
	s_waitcnt lgkmcnt(0)
	v_mov_b32_dpp v48, v47 row_shr:1 row_mask:0xf bank_mask:0xf
	s_delay_alu instid0(VALU_DEP_1) | instskip(NEXT) | instid1(VALU_DEP_1)
	v_cndmask_b32_e64 v48, v48, 0, s12
	v_add_nc_u32_e32 v47, v48, v47
	s_delay_alu instid0(VALU_DEP_1) | instskip(NEXT) | instid1(VALU_DEP_1)
	v_mov_b32_dpp v48, v47 row_shr:2 row_mask:0xf bank_mask:0xf
	v_cndmask_b32_e64 v48, 0, v48, s13
	s_delay_alu instid0(VALU_DEP_1) | instskip(NEXT) | instid1(VALU_DEP_1)
	v_add_nc_u32_e32 v47, v47, v48
	v_mov_b32_dpp v48, v47 row_shr:4 row_mask:0xf bank_mask:0xf
	s_delay_alu instid0(VALU_DEP_1) | instskip(NEXT) | instid1(VALU_DEP_1)
	v_cndmask_b32_e64 v48, 0, v48, s14
	v_add_nc_u32_e32 v47, v47, v48
	ds_store_b32 v28, v47
.LBB50_16:                              ;   in Loop: Header=BB50_6 Depth=2
	s_or_b32 exec_lo, exec_lo, s15
	v_mov_b32_e32 v47, 0
	s_waitcnt lgkmcnt(0)
	s_barrier
	buffer_gl0_inv
	s_and_saveexec_b32 s15, s8
	s_cbranch_execz .LBB50_18
; %bb.17:                               ;   in Loop: Header=BB50_6 Depth=2
	ds_load_b32 v47, v31
.LBB50_18:                              ;   in Loop: Header=BB50_6 Depth=2
	s_or_b32 exec_lo, exec_lo, s15
	s_waitcnt lgkmcnt(0)
	v_add_nc_u32_e32 v3, v47, v3
	s_cmp_gt_u32 s20, 55
	ds_bpermute_b32 v3, v26, v3
	s_waitcnt lgkmcnt(0)
	v_cndmask_b32_e64 v3, v3, v47, s9
	s_delay_alu instid0(VALU_DEP_1) | instskip(NEXT) | instid1(VALU_DEP_1)
	v_cndmask_b32_e64 v3, v3, 0, s10
	v_add_nc_u32_e32 v4, v3, v4
	s_delay_alu instid0(VALU_DEP_1) | instskip(NEXT) | instid1(VALU_DEP_1)
	v_add_nc_u32_e32 v5, v4, v5
	v_add_nc_u32_e32 v6, v5, v6
	s_delay_alu instid0(VALU_DEP_1) | instskip(NEXT) | instid1(VALU_DEP_1)
	v_add_nc_u32_e32 v47, v6, v7
	;; [unrolled: 3-line block ×3, first 2 shown]
	v_add_nc_u32_e32 v1, v0, v2
	ds_store_2addr_b64 v21, v[3:4], v[5:6] offset0:4 offset1:5
	ds_store_2addr_b64 v24, v[47:48], v[0:1] offset0:2 offset1:3
	s_waitcnt lgkmcnt(0)
	s_barrier
	buffer_gl0_inv
	ds_load_b32 v0, v40
	ds_load_b32 v1, v43
	;; [unrolled: 1-line block ×3, first 2 shown]
	s_waitcnt lgkmcnt(2)
	v_add_nc_u32_e32 v10, v0, v10
	s_waitcnt lgkmcnt(1)
	v_add3_u32 v7, v42, v41, v1
	s_waitcnt lgkmcnt(0)
	v_add3_u32 v6, v45, v44, v2
	s_cbranch_scc0 .LBB50_5
; %bb.19:                               ;   in Loop: Header=BB50_2 Depth=1
                                        ; implicit-def: $vgpr4_vgpr5
                                        ; implicit-def: $vgpr2_vgpr3
                                        ; implicit-def: $sgpr20_sgpr21
.LBB50_20:                              ;   in Loop: Header=BB50_2 Depth=1
	v_lshlrev_b32_e32 v0, 3, v10
	v_lshlrev_b32_e32 v1, 3, v7
	s_delay_alu instid0(VALU_DEP_3)
	v_lshlrev_b32_e32 v2, 3, v6
	s_barrier
	buffer_gl0_inv
	ds_store_b64 v0, v[15:16]
	ds_store_b64 v1, v[19:20]
	;; [unrolled: 1-line block ×3, first 2 shown]
	s_waitcnt lgkmcnt(0)
	s_barrier
	buffer_gl0_inv
	ds_load_2addr_b64 v[1:4], v30 offset1:1
	ds_load_b64 v[5:6], v30 offset:16
	s_waitcnt lgkmcnt(0)
	s_barrier
	buffer_gl0_inv
	s_and_saveexec_b32 s15, s0
	s_cbranch_execz .LBB50_22
; %bb.21:                               ;   in Loop: Header=BB50_2 Depth=1
	ds_store_2addr_stride64_b32 v39, v38, v38 offset0:16 offset1:20
.LBB50_22:                              ;   in Loop: Header=BB50_2 Depth=1
	s_or_b32 exec_lo, exec_lo, s15
	v_lshlrev_b32_e32 v7, 2, v3
	s_mov_b32 s15, exec_lo
	s_waitcnt lgkmcnt(0)
	s_barrier
	buffer_gl0_inv
	ds_store_b64 v34, v[5:6]
	v_cmpx_ne_u32_e64 v3, v5
	s_cbranch_execz .LBB50_24
; %bb.23:                               ;   in Loop: Header=BB50_2 Depth=1
	v_lshlrev_b32_e32 v0, 2, v5
	ds_store_b32 v0, v36 offset:4096
	ds_store_b32 v7, v36 offset:5120
.LBB50_24:                              ;   in Loop: Header=BB50_2 Depth=1
	s_or_b32 exec_lo, exec_lo, s15
	v_lshlrev_b32_e32 v0, 2, v1
	s_mov_b32 s15, exec_lo
	v_cmpx_ne_u32_e64 v3, v1
	s_cbranch_execz .LBB50_26
; %bb.25:                               ;   in Loop: Header=BB50_2 Depth=1
	ds_store_b32 v7, v35 offset:4096
	ds_store_b32 v0, v35 offset:5120
.LBB50_26:                              ;   in Loop: Header=BB50_2 Depth=1
	s_or_b32 exec_lo, exec_lo, s15
	s_waitcnt lgkmcnt(0)
	s_barrier
	buffer_gl0_inv
	s_and_saveexec_b32 s15, s11
	s_cbranch_execz .LBB50_29
; %bb.27:                               ;   in Loop: Header=BB50_2 Depth=1
	ds_load_b32 v7, v37
	s_waitcnt lgkmcnt(0)
	v_cmp_ne_u32_e32 vcc_lo, v7, v1
	s_and_b32 exec_lo, exec_lo, vcc_lo
	s_cbranch_execz .LBB50_29
; %bb.28:                               ;   in Loop: Header=BB50_2 Depth=1
	ds_store_b32 v0, v33 offset:4096
	ds_load_b32 v7, v37
	s_waitcnt lgkmcnt(0)
	v_lshlrev_b32_e32 v7, 2, v7
	ds_store_b32 v7, v33 offset:5120
.LBB50_29:                              ;   in Loop: Header=BB50_2 Depth=1
	s_or_b32 exec_lo, exec_lo, s15
	s_waitcnt lgkmcnt(0)
	s_barrier
	buffer_gl0_inv
	s_and_saveexec_b32 s15, s10
	s_cbranch_execz .LBB50_31
; %bb.30:                               ;   in Loop: Header=BB50_2 Depth=1
	ds_store_b32 v0, v9 offset:4096
.LBB50_31:                              ;   in Loop: Header=BB50_2 Depth=1
	s_or_b32 exec_lo, exec_lo, s15
	s_waitcnt lgkmcnt(0)
	s_barrier
	buffer_gl0_inv
	s_and_saveexec_b32 s15, s0
	s_cbranch_execz .LBB50_1
; %bb.32:                               ;   in Loop: Header=BB50_2 Depth=1
	ds_load_2addr_stride64_b32 v[15:16], v39 offset0:16 offset1:20
	ds_load_b64 v[17:18], v29
	s_waitcnt lgkmcnt(1)
	v_sub_nc_u32_e32 v0, v16, v15
	s_waitcnt lgkmcnt(0)
	s_delay_alu instid0(VALU_DEP_1)
	v_add_co_u32 v15, vcc_lo, v17, v0
	v_add_co_ci_u32_e32 v16, vcc_lo, 0, v18, vcc_lo
	ds_store_b64 v29, v[15:16]
	s_branch .LBB50_1
.LBB50_33:
	s_and_saveexec_b32 s1, s0
	s_cbranch_execz .LBB50_35
; %bb.34:
	ds_load_b64 v[0:1], v29
	v_mov_b32_e32 v9, 0
	s_delay_alu instid0(VALU_DEP_1) | instskip(NEXT) | instid1(VALU_DEP_1)
	v_lshlrev_b64 v[2:3], 3, v[8:9]
	v_add_co_u32 v2, vcc_lo, s18, v2
	s_delay_alu instid0(VALU_DEP_2)
	v_add_co_ci_u32_e32 v3, vcc_lo, s19, v3, vcc_lo
	s_waitcnt lgkmcnt(0)
	global_store_b64 v[2:3], v[0:1], off
.LBB50_35:
	s_nop 0
	s_sendmsg sendmsg(MSG_DEALLOC_VGPRS)
	s_endpgm
	.section	.rodata,"a",@progbits
	.p2align	6, 0x0
	.amdhsa_kernel _Z6kernelI9histogramILN6hipcub23BlockHistogramAlgorithmE1EEyLj256ELj3ELj256ELj100EEvPKT0_PS4_
		.amdhsa_group_segment_fixed_size 10272
		.amdhsa_private_segment_fixed_size 0
		.amdhsa_kernarg_size 272
		.amdhsa_user_sgpr_count 15
		.amdhsa_user_sgpr_dispatch_ptr 0
		.amdhsa_user_sgpr_queue_ptr 0
		.amdhsa_user_sgpr_kernarg_segment_ptr 1
		.amdhsa_user_sgpr_dispatch_id 0
		.amdhsa_user_sgpr_private_segment_size 0
		.amdhsa_wavefront_size32 1
		.amdhsa_uses_dynamic_stack 0
		.amdhsa_enable_private_segment 0
		.amdhsa_system_sgpr_workgroup_id_x 1
		.amdhsa_system_sgpr_workgroup_id_y 0
		.amdhsa_system_sgpr_workgroup_id_z 0
		.amdhsa_system_sgpr_workgroup_info 0
		.amdhsa_system_vgpr_workitem_id 2
		.amdhsa_next_free_vgpr 49
		.amdhsa_next_free_sgpr 22
		.amdhsa_reserve_vcc 1
		.amdhsa_float_round_mode_32 0
		.amdhsa_float_round_mode_16_64 0
		.amdhsa_float_denorm_mode_32 3
		.amdhsa_float_denorm_mode_16_64 3
		.amdhsa_dx10_clamp 1
		.amdhsa_ieee_mode 1
		.amdhsa_fp16_overflow 0
		.amdhsa_workgroup_processor_mode 1
		.amdhsa_memory_ordered 1
		.amdhsa_forward_progress 0
		.amdhsa_shared_vgpr_count 0
		.amdhsa_exception_fp_ieee_invalid_op 0
		.amdhsa_exception_fp_denorm_src 0
		.amdhsa_exception_fp_ieee_div_zero 0
		.amdhsa_exception_fp_ieee_overflow 0
		.amdhsa_exception_fp_ieee_underflow 0
		.amdhsa_exception_fp_ieee_inexact 0
		.amdhsa_exception_int_div_zero 0
	.end_amdhsa_kernel
	.section	.text._Z6kernelI9histogramILN6hipcub23BlockHistogramAlgorithmE1EEyLj256ELj3ELj256ELj100EEvPKT0_PS4_,"axG",@progbits,_Z6kernelI9histogramILN6hipcub23BlockHistogramAlgorithmE1EEyLj256ELj3ELj256ELj100EEvPKT0_PS4_,comdat
.Lfunc_end50:
	.size	_Z6kernelI9histogramILN6hipcub23BlockHistogramAlgorithmE1EEyLj256ELj3ELj256ELj100EEvPKT0_PS4_, .Lfunc_end50-_Z6kernelI9histogramILN6hipcub23BlockHistogramAlgorithmE1EEyLj256ELj3ELj256ELj100EEvPKT0_PS4_
                                        ; -- End function
	.section	.AMDGPU.csdata,"",@progbits
; Kernel info:
; codeLenInByte = 2912
; NumSgprs: 24
; NumVgprs: 49
; ScratchSize: 0
; MemoryBound: 0
; FloatMode: 240
; IeeeMode: 1
; LDSByteSize: 10272 bytes/workgroup (compile time only)
; SGPRBlocks: 2
; VGPRBlocks: 6
; NumSGPRsForWavesPerEU: 24
; NumVGPRsForWavesPerEU: 49
; Occupancy: 16
; WaveLimiterHint : 0
; COMPUTE_PGM_RSRC2:SCRATCH_EN: 0
; COMPUTE_PGM_RSRC2:USER_SGPR: 15
; COMPUTE_PGM_RSRC2:TRAP_HANDLER: 0
; COMPUTE_PGM_RSRC2:TGID_X_EN: 1
; COMPUTE_PGM_RSRC2:TGID_Y_EN: 0
; COMPUTE_PGM_RSRC2:TGID_Z_EN: 0
; COMPUTE_PGM_RSRC2:TIDIG_COMP_CNT: 2
	.section	.text._Z6kernelI9histogramILN6hipcub23BlockHistogramAlgorithmE1EEyLj256ELj4ELj256ELj100EEvPKT0_PS4_,"axG",@progbits,_Z6kernelI9histogramILN6hipcub23BlockHistogramAlgorithmE1EEyLj256ELj4ELj256ELj100EEvPKT0_PS4_,comdat
	.protected	_Z6kernelI9histogramILN6hipcub23BlockHistogramAlgorithmE1EEyLj256ELj4ELj256ELj100EEvPKT0_PS4_ ; -- Begin function _Z6kernelI9histogramILN6hipcub23BlockHistogramAlgorithmE1EEyLj256ELj4ELj256ELj100EEvPKT0_PS4_
	.globl	_Z6kernelI9histogramILN6hipcub23BlockHistogramAlgorithmE1EEyLj256ELj4ELj256ELj100EEvPKT0_PS4_
	.p2align	8
	.type	_Z6kernelI9histogramILN6hipcub23BlockHistogramAlgorithmE1EEyLj256ELj4ELj256ELj100EEvPKT0_PS4_,@function
_Z6kernelI9histogramILN6hipcub23BlockHistogramAlgorithmE1EEyLj256ELj4ELj256ELj100EEvPKT0_PS4_: ; @_Z6kernelI9histogramILN6hipcub23BlockHistogramAlgorithmE1EEyLj256ELj4ELj256ELj100EEvPKT0_PS4_
; %bb.0:
	v_dual_mov_b32 v10, 0 :: v_dual_and_b32 v9, 0x3ff, v0
	s_clause 0x1
	s_load_b128 s[20:23], s[0:1], 0x0
	s_load_b32 s3, s[0:1], 0x1c
	v_mbcnt_lo_u32_b32 v13, -1, 0
	v_lshlrev_b32_e32 v24, 2, v9
	v_mov_b32_e32 v2, v10
	v_bfe_u32 v11, v0, 10, 10
	v_bfe_u32 v0, v0, 20, 10
	v_and_b32_e32 v25, 28, v13
	v_lshl_or_b32 v1, s15, 10, v24
	v_lshlrev_b32_e32 v26, 5, v9
	v_cmp_eq_u32_e64 s12, 0, v13
	v_cmp_gt_u32_e64 s0, 0x100, v9
	v_or_b32_e32 v27, 32, v25
	v_lshlrev_b64 v[1:2], 3, v[1:2]
	v_mad_i32_i24 v33, 0xffffffe4, v9, v26
	v_or_b32_e32 v28, 64, v25
	v_or_b32_e32 v29, 0x60, v25
	v_add_nc_u32_e32 v30, 32, v26
	v_cmp_gt_u32_e64 s10, 8, v9
	v_mad_u32_u24 v36, v9, 28, v33
	s_waitcnt lgkmcnt(0)
	v_add_co_u32 v5, vcc_lo, s20, v1
	v_add_co_ci_u32_e32 v6, vcc_lo, s21, v2, vcc_lo
	s_lshr_b32 s2, s3, 16
	s_and_b32 s3, s3, 0xffff
	s_clause 0x1
	global_load_b128 v[1:4], v[5:6], off offset:16
	global_load_b128 v[5:8], v[5:6], off
	v_mad_u32_u24 v0, v0, s2, v11
	s_mov_b32 s20, 0
	v_mad_i32_i24 v40, 0xffffffe8, v9, v36
	s_mov_b32 s21, s20
	s_mov_b32 s24, s20
	v_mad_u64_u32 v[11:12], null, v0, s3, v[9:10]
	v_and_b32_e32 v0, 15, v13
	v_and_b32_e32 v12, 16, v13
	s_mov_b32 s25, s20
	v_and_b32_e32 v14, 3, v13
	v_cmp_lt_u32_e64 s11, 31, v9
	v_cmp_eq_u32_e64 s4, 0, v0
	v_lshrrev_b32_e32 v31, 5, v11
	v_add_nc_u32_e32 v11, -1, v13
	v_cmp_lt_u32_e64 s5, 1, v0
	v_cmp_lt_u32_e64 s6, 3, v0
	;; [unrolled: 1-line block ×3, first 2 shown]
	v_cmp_eq_u32_e64 s1, 3, v14
	v_cmp_gt_i32_e32 vcc_lo, 0, v11
	v_cmp_eq_u32_e64 s2, 2, v14
	v_cmp_eq_u32_e64 s3, 1, v14
	v_or_b32_e32 v14, 31, v9
	v_cmp_eq_u32_e64 s8, 0, v12
	v_cndmask_b32_e32 v0, v11, v13, vcc_lo
	v_and_b32_e32 v11, 7, v13
	v_cmp_eq_u32_e64 s13, 0, v9
	v_cmp_eq_u32_e64 s9, v14, v9
	v_mov_b32_e32 v14, s24
	v_lshlrev_b32_e32 v32, 2, v0
	v_lshrrev_b32_e32 v0, 3, v9
	v_cmp_ne_u32_e64 s14, 0, v9
	v_cmp_eq_u32_e64 s16, 0, v11
	v_cmp_lt_u32_e64 s17, 1, v11
	v_cmp_lt_u32_e64 s18, 3, v11
	v_and_b32_e32 v34, 28, v0
	v_and_or_b32 v0, 0x380, v24, v13
	v_dual_mov_b32 v12, s20 :: v_dual_mov_b32 v13, s21
	v_or_b32_e32 v39, 1, v24
	s_delay_alu instid0(VALU_DEP_4) | instskip(NEXT) | instid1(VALU_DEP_4)
	v_add_nc_u32_e32 v37, -4, v34
	v_lshlrev_b32_e32 v38, 3, v0
	v_sub_nc_u32_e32 v0, 0, v24
	v_or_b32_e32 v41, 2, v24
	v_or_b32_e32 v42, 3, v24
	v_lshl_add_u32 v35, v9, 3, 0x2020
	v_dual_mov_b32 v44, 0x400 :: v_dual_add_nc_u32 v43, -8, v40
	v_mov_b32_e32 v15, s25
	v_add_nc_u32_e32 v45, v40, v0
	s_branch .LBB51_2
.LBB51_1:                               ;   in Loop: Header=BB51_2 Depth=1
	s_or_b32 exec_lo, exec_lo, s19
	s_add_i32 s20, s20, 1
	s_delay_alu instid0(SALU_CYCLE_1)
	s_cmpk_eq_i32 s20, 0x64
	s_cbranch_scc1 .LBB51_37
.LBB51_2:                               ; =>This Loop Header: Depth=1
                                        ;     Child Loop BB51_6 Depth 2
	s_and_saveexec_b32 s19, s0
	s_cbranch_execz .LBB51_4
; %bb.3:                                ;   in Loop: Header=BB51_2 Depth=1
	v_mov_b32_e32 v11, v10
	ds_store_b64 v35, v[10:11]
.LBB51_4:                               ;   in Loop: Header=BB51_2 Depth=1
	s_or_b32 exec_lo, exec_lo, s19
	s_waitcnt vmcnt(0)
	ds_bpermute_b32 v0, v25, v5
	ds_bpermute_b32 v16, v25, v7
	;; [unrolled: 1-line block ×21, first 2 shown]
	s_waitcnt lgkmcnt(19)
	v_cndmask_b32_e64 v0, v0, v16, s3
	ds_bpermute_b32 v22, v25, v3
	s_waitcnt lgkmcnt(18)
	v_cndmask_b32_e64 v11, v11, v17, s3
	ds_bpermute_b32 v17, v27, v4
	s_waitcnt lgkmcnt(17)
	v_cndmask_b32_e64 v16, v18, v19, s3
	s_waitcnt lgkmcnt(16)
	v_cndmask_b32_e64 v0, v0, v20, s2
	ds_bpermute_b32 v18, v28, v2
	ds_bpermute_b32 v19, v28, v1
	;; [unrolled: 1-line block ×4, first 2 shown]
	s_waitcnt lgkmcnt(19)
	v_cndmask_b32_e64 v11, v11, v21, s2
	ds_bpermute_b32 v21, v27, v3
	ds_bpermute_b32 v54, v28, v4
	;; [unrolled: 1-line block ×5, first 2 shown]
	s_waitcnt lgkmcnt(21)
	v_cndmask_b32_e64 v3, v46, v47, s3
	v_cndmask_b32_e64 v1, v11, v23, s1
	s_waitcnt lgkmcnt(20)
	v_cndmask_b32_e64 v4, v16, v48, s2
	s_waitcnt lgkmcnt(16)
	v_cndmask_b32_e64 v11, v51, v53, s3
	v_cndmask_b32_e64 v16, v50, v52, s3
	s_waitcnt lgkmcnt(13)
	v_cndmask_b32_e64 v6, v6, v8, s3
	s_waitcnt lgkmcnt(12)
	v_cndmask_b32_e64 v5, v5, v7, s3
	s_waitcnt lgkmcnt(11)
	v_cndmask_b32_e64 v3, v3, v49, s2
	s_waitcnt lgkmcnt(10)
	v_cndmask_b32_e64 v0, v0, v22, s1
	s_mov_b64 s[24:25], 0
	s_waitcnt lgkmcnt(8)
	v_cndmask_b32_e64 v7, v11, v18, s2
	s_waitcnt lgkmcnt(7)
	v_cndmask_b32_e64 v8, v16, v19, s2
	;; [unrolled: 2-line block ×4, first 2 shown]
	v_cndmask_b32_e64 v3, v3, v17, s1
	s_waitcnt lgkmcnt(4)
	v_cndmask_b32_e64 v2, v4, v21, s1
	s_waitcnt lgkmcnt(3)
	;; [unrolled: 2-line block ×5, first 2 shown]
	v_cndmask_b32_e64 v6, v11, v57, s1
	s_barrier
	buffer_gl0_inv
	s_barrier
	s_branch .LBB51_6
.LBB51_5:                               ;   in Loop: Header=BB51_6 Depth=2
	v_lshlrev_b32_e32 v0, 3, v48
	v_lshlrev_b32_e32 v1, 3, v46
	;; [unrolled: 1-line block ×4, first 2 shown]
	s_barrier
	buffer_gl0_inv
	ds_store_b64 v0, v[16:17]
	ds_store_b64 v1, v[18:19]
	;; [unrolled: 1-line block ×4, first 2 shown]
	s_waitcnt lgkmcnt(0)
	s_barrier
	buffer_gl0_inv
	ds_load_2addr_b64 v[0:3], v38 offset1:32
	ds_load_2addr_b64 v[4:7], v38 offset0:64 offset1:96
	s_add_u32 s24, s24, 8
	s_addc_u32 s25, s25, 0
	s_waitcnt lgkmcnt(0)
	s_barrier
	s_cbranch_execz .LBB51_22
.LBB51_6:                               ;   Parent Loop BB51_2 Depth=1
                                        ; =>  This Inner Loop Header: Depth=2
	v_dual_mov_b32 v17, v1 :: v_dual_mov_b32 v16, v0
	buffer_gl0_inv
	ds_store_2addr_b64 v26, v[12:13], v[14:15] offset0:4 offset1:5
	ds_store_2addr_b64 v30, v[12:13], v[14:15] offset0:2 offset1:3
	s_waitcnt lgkmcnt(0)
	s_barrier
	v_lshrrev_b64 v[46:47], s24, v[16:17]
	buffer_gl0_inv
	; wave barrier
	v_and_b32_e32 v0, 1, v46
	v_lshlrev_b32_e32 v1, 30, v46
	v_lshlrev_b32_e32 v8, 29, v46
	;; [unrolled: 1-line block ×4, first 2 shown]
	v_add_co_u32 v0, s19, v0, -1
	s_delay_alu instid0(VALU_DEP_1)
	v_cndmask_b32_e64 v18, 0, 1, s19
	v_not_b32_e32 v22, v1
	v_cmp_gt_i32_e64 s19, 0, v1
	v_lshlrev_b32_e32 v20, 26, v46
	v_lshlrev_b32_e32 v21, 25, v46
	v_cmp_ne_u32_e32 vcc_lo, 0, v18
	v_ashrrev_i32_e32 v22, 31, v22
	v_lshlrev_b32_e32 v18, 24, v46
	v_xor_b32_e32 v0, vcc_lo, v0
	s_delay_alu instid0(VALU_DEP_3) | instskip(NEXT) | instid1(VALU_DEP_2)
	v_xor_b32_e32 v22, s19, v22
	v_and_b32_e32 v0, exec_lo, v0
	s_delay_alu instid0(VALU_DEP_1)
	v_dual_mov_b32 v23, v5 :: v_dual_and_b32 v0, v0, v22
	v_not_b32_e32 v1, v8
	v_cmp_gt_i32_e32 vcc_lo, 0, v8
	v_mov_b32_e32 v22, v4
	v_not_b32_e32 v8, v11
	v_cmp_gt_i32_e64 s19, 0, v11
	v_ashrrev_i32_e32 v1, 31, v1
	v_not_b32_e32 v11, v19
	s_delay_alu instid0(VALU_DEP_4) | instskip(NEXT) | instid1(VALU_DEP_3)
	v_ashrrev_i32_e32 v8, 31, v8
	v_xor_b32_e32 v1, vcc_lo, v1
	v_cmp_gt_i32_e32 vcc_lo, 0, v19
	v_not_b32_e32 v19, v20
	v_ashrrev_i32_e32 v11, 31, v11
	v_xor_b32_e32 v8, s19, v8
	v_and_b32_e32 v0, v0, v1
	v_cmp_gt_i32_e64 s19, 0, v20
	v_not_b32_e32 v1, v21
	v_ashrrev_i32_e32 v19, 31, v19
	v_xor_b32_e32 v11, vcc_lo, v11
	v_and_b32_e32 v0, v0, v8
	v_cmp_gt_i32_e32 vcc_lo, 0, v21
	v_mov_b32_e32 v21, v7
	v_not_b32_e32 v8, v18
	v_ashrrev_i32_e32 v1, 31, v1
	v_xor_b32_e32 v19, s19, v19
	v_and_b32_e32 v0, v0, v11
	v_cmp_gt_i32_e64 s19, 0, v18
	v_ashrrev_i32_e32 v8, 31, v8
	v_xor_b32_e32 v1, vcc_lo, v1
	v_mov_b32_e32 v20, v6
	v_dual_mov_b32 v19, v3 :: v_dual_and_b32 v0, v0, v19
	s_delay_alu instid0(VALU_DEP_4) | instskip(SKIP_1) | instid1(VALU_DEP_3)
	v_xor_b32_e32 v8, s19, v8
	v_mov_b32_e32 v18, v2
	v_and_b32_e32 v0, v0, v1
	v_and_b32_e32 v1, 0xff, v46
	s_delay_alu instid0(VALU_DEP_2) | instskip(NEXT) | instid1(VALU_DEP_2)
	v_and_b32_e32 v0, v0, v8
	v_lshl_add_u32 v1, v1, 3, v31
	s_delay_alu instid0(VALU_DEP_2) | instskip(SKIP_1) | instid1(VALU_DEP_3)
	v_mbcnt_lo_u32_b32 v8, v0, 0
	v_cmp_ne_u32_e64 s19, 0, v0
	v_lshl_add_u32 v11, v1, 2, 32
	s_delay_alu instid0(VALU_DEP_3) | instskip(NEXT) | instid1(VALU_DEP_3)
	v_cmp_eq_u32_e32 vcc_lo, 0, v8
	s_and_b32 s21, s19, vcc_lo
	s_delay_alu instid0(SALU_CYCLE_1)
	s_and_saveexec_b32 s19, s21
	s_cbranch_execz .LBB51_8
; %bb.7:                                ;   in Loop: Header=BB51_6 Depth=2
	v_bcnt_u32_b32 v0, v0, 0
	ds_store_b32 v11, v0
.LBB51_8:                               ;   in Loop: Header=BB51_6 Depth=2
	s_or_b32 exec_lo, exec_lo, s19
	v_lshrrev_b64 v[0:1], s24, v[18:19]
	; wave barrier
	s_delay_alu instid0(VALU_DEP_1)
	v_and_b32_e32 v2, 1, v0
	v_lshlrev_b32_e32 v3, 30, v0
	v_lshlrev_b32_e32 v4, 29, v0
	;; [unrolled: 1-line block ×4, first 2 shown]
	v_add_co_u32 v2, s19, v2, -1
	s_delay_alu instid0(VALU_DEP_1)
	v_cndmask_b32_e64 v6, 0, 1, s19
	v_not_b32_e32 v48, v3
	v_cmp_gt_i32_e64 s19, 0, v3
	v_not_b32_e32 v3, v4
	v_lshlrev_b32_e32 v46, 26, v0
	v_cmp_ne_u32_e32 vcc_lo, 0, v6
	v_ashrrev_i32_e32 v6, 31, v48
	v_lshlrev_b32_e32 v47, 25, v0
	v_ashrrev_i32_e32 v3, 31, v3
	v_and_b32_e32 v1, 0xff, v0
	v_xor_b32_e32 v2, vcc_lo, v2
	v_cmp_gt_i32_e32 vcc_lo, 0, v4
	v_not_b32_e32 v4, v5
	v_xor_b32_e32 v6, s19, v6
	v_cmp_gt_i32_e64 s19, 0, v5
	v_and_b32_e32 v2, exec_lo, v2
	v_not_b32_e32 v5, v7
	v_ashrrev_i32_e32 v4, 31, v4
	v_xor_b32_e32 v3, vcc_lo, v3
	v_cmp_gt_i32_e32 vcc_lo, 0, v7
	v_and_b32_e32 v2, v2, v6
	v_not_b32_e32 v6, v46
	v_ashrrev_i32_e32 v5, 31, v5
	v_xor_b32_e32 v4, s19, v4
	v_lshlrev_b32_e32 v0, 24, v0
	v_and_b32_e32 v2, v2, v3
	v_cmp_gt_i32_e64 s19, 0, v46
	v_not_b32_e32 v3, v47
	v_ashrrev_i32_e32 v6, 31, v6
	v_xor_b32_e32 v5, vcc_lo, v5
	v_and_b32_e32 v2, v2, v4
	v_cmp_gt_i32_e32 vcc_lo, 0, v47
	v_not_b32_e32 v4, v0
	v_ashrrev_i32_e32 v3, 31, v3
	v_xor_b32_e32 v6, s19, v6
	v_and_b32_e32 v2, v2, v5
	v_lshlrev_b32_e32 v1, 3, v1
	v_cmp_gt_i32_e64 s19, 0, v0
	v_ashrrev_i32_e32 v0, 31, v4
	v_xor_b32_e32 v3, vcc_lo, v3
	v_and_b32_e32 v2, v2, v6
	v_add_lshl_u32 v1, v1, v31, 2
	s_delay_alu instid0(VALU_DEP_4) | instskip(NEXT) | instid1(VALU_DEP_3)
	v_xor_b32_e32 v0, s19, v0
	v_and_b32_e32 v2, v2, v3
	ds_load_b32 v46, v1 offset:32
	v_add_nc_u32_e32 v48, 32, v1
	; wave barrier
	v_and_b32_e32 v0, v2, v0
	s_delay_alu instid0(VALU_DEP_1) | instskip(SKIP_1) | instid1(VALU_DEP_2)
	v_mbcnt_lo_u32_b32 v47, v0, 0
	v_cmp_ne_u32_e64 s19, 0, v0
	v_cmp_eq_u32_e32 vcc_lo, 0, v47
	s_delay_alu instid0(VALU_DEP_2) | instskip(NEXT) | instid1(SALU_CYCLE_1)
	s_and_b32 s21, s19, vcc_lo
	s_and_saveexec_b32 s19, s21
	s_cbranch_execz .LBB51_10
; %bb.9:                                ;   in Loop: Header=BB51_6 Depth=2
	s_waitcnt lgkmcnt(0)
	v_bcnt_u32_b32 v0, v0, v46
	ds_store_b32 v48, v0
.LBB51_10:                              ;   in Loop: Header=BB51_6 Depth=2
	s_or_b32 exec_lo, exec_lo, s19
	v_lshrrev_b64 v[0:1], s24, v[22:23]
	; wave barrier
	s_delay_alu instid0(VALU_DEP_1)
	v_and_b32_e32 v2, 1, v0
	v_lshlrev_b32_e32 v3, 30, v0
	v_lshlrev_b32_e32 v4, 29, v0
	;; [unrolled: 1-line block ×4, first 2 shown]
	v_add_co_u32 v2, s19, v2, -1
	s_delay_alu instid0(VALU_DEP_1)
	v_cndmask_b32_e64 v6, 0, 1, s19
	v_not_b32_e32 v51, v3
	v_cmp_gt_i32_e64 s19, 0, v3
	v_not_b32_e32 v3, v4
	v_lshlrev_b32_e32 v49, 26, v0
	v_cmp_ne_u32_e32 vcc_lo, 0, v6
	v_ashrrev_i32_e32 v6, 31, v51
	v_lshlrev_b32_e32 v50, 25, v0
	v_ashrrev_i32_e32 v3, 31, v3
	v_and_b32_e32 v1, 0xff, v0
	v_xor_b32_e32 v2, vcc_lo, v2
	v_cmp_gt_i32_e32 vcc_lo, 0, v4
	v_not_b32_e32 v4, v5
	v_xor_b32_e32 v6, s19, v6
	v_cmp_gt_i32_e64 s19, 0, v5
	v_and_b32_e32 v2, exec_lo, v2
	v_not_b32_e32 v5, v7
	v_ashrrev_i32_e32 v4, 31, v4
	v_xor_b32_e32 v3, vcc_lo, v3
	v_cmp_gt_i32_e32 vcc_lo, 0, v7
	v_and_b32_e32 v2, v2, v6
	v_not_b32_e32 v6, v49
	v_ashrrev_i32_e32 v5, 31, v5
	v_xor_b32_e32 v4, s19, v4
	v_lshlrev_b32_e32 v0, 24, v0
	v_and_b32_e32 v2, v2, v3
	v_cmp_gt_i32_e64 s19, 0, v49
	v_not_b32_e32 v3, v50
	v_ashrrev_i32_e32 v6, 31, v6
	v_xor_b32_e32 v5, vcc_lo, v5
	v_and_b32_e32 v2, v2, v4
	v_cmp_gt_i32_e32 vcc_lo, 0, v50
	v_not_b32_e32 v4, v0
	v_ashrrev_i32_e32 v3, 31, v3
	v_xor_b32_e32 v6, s19, v6
	v_and_b32_e32 v2, v2, v5
	v_lshlrev_b32_e32 v1, 3, v1
	v_cmp_gt_i32_e64 s19, 0, v0
	v_ashrrev_i32_e32 v0, 31, v4
	v_xor_b32_e32 v3, vcc_lo, v3
	v_and_b32_e32 v2, v2, v6
	v_add_lshl_u32 v1, v1, v31, 2
	s_delay_alu instid0(VALU_DEP_4) | instskip(NEXT) | instid1(VALU_DEP_3)
	v_xor_b32_e32 v0, s19, v0
	v_and_b32_e32 v2, v2, v3
	ds_load_b32 v49, v1 offset:32
	v_add_nc_u32_e32 v51, 32, v1
	; wave barrier
	v_and_b32_e32 v0, v2, v0
	s_delay_alu instid0(VALU_DEP_1) | instskip(SKIP_1) | instid1(VALU_DEP_2)
	v_mbcnt_lo_u32_b32 v50, v0, 0
	v_cmp_ne_u32_e64 s19, 0, v0
	v_cmp_eq_u32_e32 vcc_lo, 0, v50
	s_delay_alu instid0(VALU_DEP_2) | instskip(NEXT) | instid1(SALU_CYCLE_1)
	s_and_b32 s21, s19, vcc_lo
	s_and_saveexec_b32 s19, s21
	s_cbranch_execz .LBB51_12
; %bb.11:                               ;   in Loop: Header=BB51_6 Depth=2
	s_waitcnt lgkmcnt(0)
	v_bcnt_u32_b32 v0, v0, v49
	ds_store_b32 v51, v0
.LBB51_12:                              ;   in Loop: Header=BB51_6 Depth=2
	s_or_b32 exec_lo, exec_lo, s19
	v_lshrrev_b64 v[0:1], s24, v[20:21]
	; wave barrier
	s_delay_alu instid0(VALU_DEP_1)
	v_and_b32_e32 v2, 1, v0
	v_lshlrev_b32_e32 v3, 30, v0
	v_lshlrev_b32_e32 v4, 29, v0
	;; [unrolled: 1-line block ×4, first 2 shown]
	v_add_co_u32 v2, s19, v2, -1
	s_delay_alu instid0(VALU_DEP_1)
	v_cndmask_b32_e64 v6, 0, 1, s19
	v_not_b32_e32 v54, v3
	v_cmp_gt_i32_e64 s19, 0, v3
	v_not_b32_e32 v3, v4
	v_lshlrev_b32_e32 v52, 26, v0
	v_cmp_ne_u32_e32 vcc_lo, 0, v6
	v_ashrrev_i32_e32 v6, 31, v54
	v_lshlrev_b32_e32 v53, 25, v0
	v_ashrrev_i32_e32 v3, 31, v3
	v_and_b32_e32 v1, 0xff, v0
	v_xor_b32_e32 v2, vcc_lo, v2
	v_cmp_gt_i32_e32 vcc_lo, 0, v4
	v_not_b32_e32 v4, v5
	v_xor_b32_e32 v6, s19, v6
	v_cmp_gt_i32_e64 s19, 0, v5
	v_and_b32_e32 v2, exec_lo, v2
	v_not_b32_e32 v5, v7
	v_ashrrev_i32_e32 v4, 31, v4
	v_xor_b32_e32 v3, vcc_lo, v3
	v_cmp_gt_i32_e32 vcc_lo, 0, v7
	v_and_b32_e32 v2, v2, v6
	v_not_b32_e32 v6, v52
	v_ashrrev_i32_e32 v5, 31, v5
	v_xor_b32_e32 v4, s19, v4
	v_lshlrev_b32_e32 v0, 24, v0
	v_and_b32_e32 v2, v2, v3
	v_cmp_gt_i32_e64 s19, 0, v52
	v_not_b32_e32 v3, v53
	v_ashrrev_i32_e32 v6, 31, v6
	v_xor_b32_e32 v5, vcc_lo, v5
	v_and_b32_e32 v2, v2, v4
	v_cmp_gt_i32_e32 vcc_lo, 0, v53
	v_not_b32_e32 v4, v0
	v_ashrrev_i32_e32 v3, 31, v3
	v_xor_b32_e32 v6, s19, v6
	v_and_b32_e32 v2, v2, v5
	v_lshlrev_b32_e32 v1, 3, v1
	v_cmp_gt_i32_e64 s19, 0, v0
	v_ashrrev_i32_e32 v0, 31, v4
	v_xor_b32_e32 v3, vcc_lo, v3
	v_and_b32_e32 v2, v2, v6
	v_add_lshl_u32 v1, v1, v31, 2
	s_delay_alu instid0(VALU_DEP_4) | instskip(NEXT) | instid1(VALU_DEP_3)
	v_xor_b32_e32 v0, s19, v0
	v_and_b32_e32 v2, v2, v3
	ds_load_b32 v52, v1 offset:32
	v_add_nc_u32_e32 v54, 32, v1
	; wave barrier
	v_and_b32_e32 v0, v2, v0
	s_delay_alu instid0(VALU_DEP_1) | instskip(SKIP_1) | instid1(VALU_DEP_2)
	v_mbcnt_lo_u32_b32 v53, v0, 0
	v_cmp_ne_u32_e64 s19, 0, v0
	v_cmp_eq_u32_e32 vcc_lo, 0, v53
	s_delay_alu instid0(VALU_DEP_2) | instskip(NEXT) | instid1(SALU_CYCLE_1)
	s_and_b32 s21, s19, vcc_lo
	s_and_saveexec_b32 s19, s21
	s_cbranch_execz .LBB51_14
; %bb.13:                               ;   in Loop: Header=BB51_6 Depth=2
	s_waitcnt lgkmcnt(0)
	v_bcnt_u32_b32 v0, v0, v52
	ds_store_b32 v54, v0
.LBB51_14:                              ;   in Loop: Header=BB51_6 Depth=2
	s_or_b32 exec_lo, exec_lo, s19
	; wave barrier
	s_waitcnt lgkmcnt(0)
	s_barrier
	buffer_gl0_inv
	ds_load_2addr_b64 v[4:7], v26 offset0:4 offset1:5
	ds_load_2addr_b64 v[0:3], v30 offset0:2 offset1:3
	s_waitcnt lgkmcnt(1)
	v_add_nc_u32_e32 v55, v5, v4
	s_delay_alu instid0(VALU_DEP_1) | instskip(SKIP_1) | instid1(VALU_DEP_1)
	v_add3_u32 v55, v55, v6, v7
	s_waitcnt lgkmcnt(0)
	v_add3_u32 v55, v55, v0, v1
	s_delay_alu instid0(VALU_DEP_1) | instskip(NEXT) | instid1(VALU_DEP_1)
	v_add3_u32 v3, v55, v2, v3
	v_mov_b32_dpp v55, v3 row_shr:1 row_mask:0xf bank_mask:0xf
	s_delay_alu instid0(VALU_DEP_1) | instskip(NEXT) | instid1(VALU_DEP_1)
	v_cndmask_b32_e64 v55, v55, 0, s4
	v_add_nc_u32_e32 v3, v55, v3
	s_delay_alu instid0(VALU_DEP_1) | instskip(NEXT) | instid1(VALU_DEP_1)
	v_mov_b32_dpp v55, v3 row_shr:2 row_mask:0xf bank_mask:0xf
	v_cndmask_b32_e64 v55, 0, v55, s5
	s_delay_alu instid0(VALU_DEP_1) | instskip(NEXT) | instid1(VALU_DEP_1)
	v_add_nc_u32_e32 v3, v3, v55
	v_mov_b32_dpp v55, v3 row_shr:4 row_mask:0xf bank_mask:0xf
	s_delay_alu instid0(VALU_DEP_1) | instskip(NEXT) | instid1(VALU_DEP_1)
	v_cndmask_b32_e64 v55, 0, v55, s6
	v_add_nc_u32_e32 v3, v3, v55
	s_delay_alu instid0(VALU_DEP_1) | instskip(NEXT) | instid1(VALU_DEP_1)
	v_mov_b32_dpp v55, v3 row_shr:8 row_mask:0xf bank_mask:0xf
	v_cndmask_b32_e64 v55, 0, v55, s7
	s_delay_alu instid0(VALU_DEP_1) | instskip(SKIP_3) | instid1(VALU_DEP_1)
	v_add_nc_u32_e32 v3, v3, v55
	ds_swizzle_b32 v55, v3 offset:swizzle(BROADCAST,32,15)
	s_waitcnt lgkmcnt(0)
	v_cndmask_b32_e64 v55, v55, 0, s8
	v_add_nc_u32_e32 v3, v3, v55
	s_and_saveexec_b32 s19, s9
	s_cbranch_execz .LBB51_16
; %bb.15:                               ;   in Loop: Header=BB51_6 Depth=2
	ds_store_b32 v34, v3
.LBB51_16:                              ;   in Loop: Header=BB51_6 Depth=2
	s_or_b32 exec_lo, exec_lo, s19
	s_waitcnt lgkmcnt(0)
	s_barrier
	buffer_gl0_inv
	s_and_saveexec_b32 s19, s10
	s_cbranch_execz .LBB51_18
; %bb.17:                               ;   in Loop: Header=BB51_6 Depth=2
	ds_load_b32 v55, v33
	s_waitcnt lgkmcnt(0)
	v_mov_b32_dpp v56, v55 row_shr:1 row_mask:0xf bank_mask:0xf
	s_delay_alu instid0(VALU_DEP_1) | instskip(NEXT) | instid1(VALU_DEP_1)
	v_cndmask_b32_e64 v56, v56, 0, s16
	v_add_nc_u32_e32 v55, v56, v55
	s_delay_alu instid0(VALU_DEP_1) | instskip(NEXT) | instid1(VALU_DEP_1)
	v_mov_b32_dpp v56, v55 row_shr:2 row_mask:0xf bank_mask:0xf
	v_cndmask_b32_e64 v56, 0, v56, s17
	s_delay_alu instid0(VALU_DEP_1) | instskip(NEXT) | instid1(VALU_DEP_1)
	v_add_nc_u32_e32 v55, v55, v56
	v_mov_b32_dpp v56, v55 row_shr:4 row_mask:0xf bank_mask:0xf
	s_delay_alu instid0(VALU_DEP_1) | instskip(NEXT) | instid1(VALU_DEP_1)
	v_cndmask_b32_e64 v56, 0, v56, s18
	v_add_nc_u32_e32 v55, v55, v56
	ds_store_b32 v33, v55
.LBB51_18:                              ;   in Loop: Header=BB51_6 Depth=2
	s_or_b32 exec_lo, exec_lo, s19
	v_mov_b32_e32 v55, 0
	s_waitcnt lgkmcnt(0)
	s_barrier
	buffer_gl0_inv
	s_and_saveexec_b32 s19, s11
	s_cbranch_execz .LBB51_20
; %bb.19:                               ;   in Loop: Header=BB51_6 Depth=2
	ds_load_b32 v55, v37
.LBB51_20:                              ;   in Loop: Header=BB51_6 Depth=2
	s_or_b32 exec_lo, exec_lo, s19
	s_waitcnt lgkmcnt(0)
	v_add_nc_u32_e32 v3, v55, v3
	s_cmp_gt_u32 s24, 55
	ds_bpermute_b32 v3, v32, v3
	s_waitcnt lgkmcnt(0)
	v_cndmask_b32_e64 v3, v3, v55, s12
	s_delay_alu instid0(VALU_DEP_1) | instskip(NEXT) | instid1(VALU_DEP_1)
	v_cndmask_b32_e64 v3, v3, 0, s13
	v_add_nc_u32_e32 v4, v3, v4
	s_delay_alu instid0(VALU_DEP_1) | instskip(NEXT) | instid1(VALU_DEP_1)
	v_add_nc_u32_e32 v5, v4, v5
	v_add_nc_u32_e32 v6, v5, v6
	s_delay_alu instid0(VALU_DEP_1) | instskip(NEXT) | instid1(VALU_DEP_1)
	v_add_nc_u32_e32 v55, v6, v7
	;; [unrolled: 3-line block ×3, first 2 shown]
	v_add_nc_u32_e32 v1, v0, v2
	ds_store_2addr_b64 v26, v[3:4], v[5:6] offset0:4 offset1:5
	ds_store_2addr_b64 v30, v[55:56], v[0:1] offset0:2 offset1:3
	s_waitcnt lgkmcnt(0)
	s_barrier
	buffer_gl0_inv
	ds_load_b32 v0, v11
	ds_load_b32 v1, v48
	;; [unrolled: 1-line block ×4, first 2 shown]
	s_waitcnt lgkmcnt(3)
	v_add_nc_u32_e32 v48, v0, v8
	s_waitcnt lgkmcnt(2)
	v_add3_u32 v46, v47, v46, v1
	s_waitcnt lgkmcnt(1)
	v_add3_u32 v11, v50, v49, v2
	s_waitcnt lgkmcnt(0)
	v_add3_u32 v8, v53, v52, v3
	s_cbranch_scc0 .LBB51_5
; %bb.21:                               ;   in Loop: Header=BB51_2 Depth=1
                                        ; implicit-def: $vgpr0_vgpr1
                                        ; implicit-def: $vgpr4_vgpr5
                                        ; implicit-def: $sgpr24_sgpr25
.LBB51_22:                              ;   in Loop: Header=BB51_2 Depth=1
	v_lshlrev_b32_e32 v0, 3, v48
	v_lshlrev_b32_e32 v1, 3, v46
	;; [unrolled: 1-line block ×4, first 2 shown]
	s_barrier
	buffer_gl0_inv
	ds_store_b64 v0, v[16:17]
	ds_store_b64 v1, v[18:19]
	;; [unrolled: 1-line block ×4, first 2 shown]
	s_waitcnt lgkmcnt(0)
	s_barrier
	buffer_gl0_inv
	ds_load_2addr_b64 v[5:8], v36 offset1:1
	ds_load_2addr_b64 v[1:4], v36 offset0:2 offset1:3
	s_waitcnt lgkmcnt(0)
	s_barrier
	buffer_gl0_inv
	s_and_saveexec_b32 s19, s0
	s_cbranch_execz .LBB51_24
; %bb.23:                               ;   in Loop: Header=BB51_2 Depth=1
	ds_store_2addr_stride64_b32 v45, v44, v44 offset0:16 offset1:20
.LBB51_24:                              ;   in Loop: Header=BB51_2 Depth=1
	s_or_b32 exec_lo, exec_lo, s19
	v_lshlrev_b32_e32 v0, 2, v1
	s_mov_b32 s19, exec_lo
	s_waitcnt lgkmcnt(0)
	s_barrier
	buffer_gl0_inv
	ds_store_b64 v40, v[3:4]
	v_cmpx_ne_u32_e64 v1, v3
	s_cbranch_execz .LBB51_26
; %bb.25:                               ;   in Loop: Header=BB51_2 Depth=1
	v_lshlrev_b32_e32 v11, 2, v3
	ds_store_b32 v11, v42 offset:4096
	ds_store_b32 v0, v42 offset:5120
.LBB51_26:                              ;   in Loop: Header=BB51_2 Depth=1
	s_or_b32 exec_lo, exec_lo, s19
	v_dual_mov_b32 v16, v1 :: v_dual_lshlrev_b32 v11, 2, v7
	s_mov_b32 s19, exec_lo
	v_cmpx_ne_u32_e64 v1, v7
	s_cbranch_execz .LBB51_28
; %bb.27:                               ;   in Loop: Header=BB51_2 Depth=1
	v_mov_b32_e32 v16, v7
	ds_store_b32 v0, v41 offset:4096
	ds_store_b32 v11, v41 offset:5120
.LBB51_28:                              ;   in Loop: Header=BB51_2 Depth=1
	s_or_b32 exec_lo, exec_lo, s19
	v_lshlrev_b32_e32 v0, 2, v5
	s_mov_b32 s19, exec_lo
	v_cmpx_ne_u32_e64 v16, v5
	s_cbranch_execz .LBB51_30
; %bb.29:                               ;   in Loop: Header=BB51_2 Depth=1
	ds_store_b32 v11, v39 offset:4096
	ds_store_b32 v0, v39 offset:5120
.LBB51_30:                              ;   in Loop: Header=BB51_2 Depth=1
	s_or_b32 exec_lo, exec_lo, s19
	s_waitcnt lgkmcnt(0)
	s_barrier
	buffer_gl0_inv
	s_and_saveexec_b32 s19, s14
	s_cbranch_execz .LBB51_33
; %bb.31:                               ;   in Loop: Header=BB51_2 Depth=1
	ds_load_b32 v11, v43
	s_waitcnt lgkmcnt(0)
	v_cmp_ne_u32_e32 vcc_lo, v11, v5
	s_and_b32 exec_lo, exec_lo, vcc_lo
	s_cbranch_execz .LBB51_33
; %bb.32:                               ;   in Loop: Header=BB51_2 Depth=1
	ds_store_b32 v0, v24 offset:4096
	ds_load_b32 v11, v43
	s_waitcnt lgkmcnt(0)
	v_lshlrev_b32_e32 v11, 2, v11
	ds_store_b32 v11, v24 offset:5120
.LBB51_33:                              ;   in Loop: Header=BB51_2 Depth=1
	s_or_b32 exec_lo, exec_lo, s19
	s_waitcnt lgkmcnt(0)
	s_barrier
	buffer_gl0_inv
	s_and_saveexec_b32 s19, s13
	s_cbranch_execz .LBB51_35
; %bb.34:                               ;   in Loop: Header=BB51_2 Depth=1
	ds_store_b32 v0, v10 offset:4096
.LBB51_35:                              ;   in Loop: Header=BB51_2 Depth=1
	s_or_b32 exec_lo, exec_lo, s19
	s_waitcnt lgkmcnt(0)
	s_barrier
	buffer_gl0_inv
	s_and_saveexec_b32 s19, s0
	s_cbranch_execz .LBB51_1
; %bb.36:                               ;   in Loop: Header=BB51_2 Depth=1
	ds_load_2addr_stride64_b32 v[16:17], v45 offset0:16 offset1:20
	ds_load_b64 v[18:19], v35
	s_waitcnt lgkmcnt(1)
	v_sub_nc_u32_e32 v0, v17, v16
	s_waitcnt lgkmcnt(0)
	s_delay_alu instid0(VALU_DEP_1)
	v_add_co_u32 v16, vcc_lo, v18, v0
	v_add_co_ci_u32_e32 v17, vcc_lo, 0, v19, vcc_lo
	ds_store_b64 v35, v[16:17]
	s_branch .LBB51_1
.LBB51_37:
	s_and_saveexec_b32 s1, s0
	s_cbranch_execz .LBB51_39
; %bb.38:
	ds_load_b64 v[0:1], v35
	v_lshl_or_b32 v2, s15, 8, v9
	v_mov_b32_e32 v3, 0
	s_delay_alu instid0(VALU_DEP_1) | instskip(NEXT) | instid1(VALU_DEP_1)
	v_lshlrev_b64 v[2:3], 3, v[2:3]
	v_add_co_u32 v2, vcc_lo, s22, v2
	s_delay_alu instid0(VALU_DEP_2)
	v_add_co_ci_u32_e32 v3, vcc_lo, s23, v3, vcc_lo
	s_waitcnt lgkmcnt(0)
	global_store_b64 v[2:3], v[0:1], off
.LBB51_39:
	s_nop 0
	s_sendmsg sendmsg(MSG_DEALLOC_VGPRS)
	s_endpgm
	.section	.rodata,"a",@progbits
	.p2align	6, 0x0
	.amdhsa_kernel _Z6kernelI9histogramILN6hipcub23BlockHistogramAlgorithmE1EEyLj256ELj4ELj256ELj100EEvPKT0_PS4_
		.amdhsa_group_segment_fixed_size 10272
		.amdhsa_private_segment_fixed_size 0
		.amdhsa_kernarg_size 272
		.amdhsa_user_sgpr_count 15
		.amdhsa_user_sgpr_dispatch_ptr 0
		.amdhsa_user_sgpr_queue_ptr 0
		.amdhsa_user_sgpr_kernarg_segment_ptr 1
		.amdhsa_user_sgpr_dispatch_id 0
		.amdhsa_user_sgpr_private_segment_size 0
		.amdhsa_wavefront_size32 1
		.amdhsa_uses_dynamic_stack 0
		.amdhsa_enable_private_segment 0
		.amdhsa_system_sgpr_workgroup_id_x 1
		.amdhsa_system_sgpr_workgroup_id_y 0
		.amdhsa_system_sgpr_workgroup_id_z 0
		.amdhsa_system_sgpr_workgroup_info 0
		.amdhsa_system_vgpr_workitem_id 2
		.amdhsa_next_free_vgpr 58
		.amdhsa_next_free_sgpr 26
		.amdhsa_reserve_vcc 1
		.amdhsa_float_round_mode_32 0
		.amdhsa_float_round_mode_16_64 0
		.amdhsa_float_denorm_mode_32 3
		.amdhsa_float_denorm_mode_16_64 3
		.amdhsa_dx10_clamp 1
		.amdhsa_ieee_mode 1
		.amdhsa_fp16_overflow 0
		.amdhsa_workgroup_processor_mode 1
		.amdhsa_memory_ordered 1
		.amdhsa_forward_progress 0
		.amdhsa_shared_vgpr_count 0
		.amdhsa_exception_fp_ieee_invalid_op 0
		.amdhsa_exception_fp_denorm_src 0
		.amdhsa_exception_fp_ieee_div_zero 0
		.amdhsa_exception_fp_ieee_overflow 0
		.amdhsa_exception_fp_ieee_underflow 0
		.amdhsa_exception_fp_ieee_inexact 0
		.amdhsa_exception_int_div_zero 0
	.end_amdhsa_kernel
	.section	.text._Z6kernelI9histogramILN6hipcub23BlockHistogramAlgorithmE1EEyLj256ELj4ELj256ELj100EEvPKT0_PS4_,"axG",@progbits,_Z6kernelI9histogramILN6hipcub23BlockHistogramAlgorithmE1EEyLj256ELj4ELj256ELj100EEvPKT0_PS4_,comdat
.Lfunc_end51:
	.size	_Z6kernelI9histogramILN6hipcub23BlockHistogramAlgorithmE1EEyLj256ELj4ELj256ELj100EEvPKT0_PS4_, .Lfunc_end51-_Z6kernelI9histogramILN6hipcub23BlockHistogramAlgorithmE1EEyLj256ELj4ELj256ELj100EEvPKT0_PS4_
                                        ; -- End function
	.section	.AMDGPU.csdata,"",@progbits
; Kernel info:
; codeLenInByte = 3772
; NumSgprs: 28
; NumVgprs: 58
; ScratchSize: 0
; MemoryBound: 0
; FloatMode: 240
; IeeeMode: 1
; LDSByteSize: 10272 bytes/workgroup (compile time only)
; SGPRBlocks: 3
; VGPRBlocks: 7
; NumSGPRsForWavesPerEU: 28
; NumVGPRsForWavesPerEU: 58
; Occupancy: 16
; WaveLimiterHint : 0
; COMPUTE_PGM_RSRC2:SCRATCH_EN: 0
; COMPUTE_PGM_RSRC2:USER_SGPR: 15
; COMPUTE_PGM_RSRC2:TRAP_HANDLER: 0
; COMPUTE_PGM_RSRC2:TGID_X_EN: 1
; COMPUTE_PGM_RSRC2:TGID_Y_EN: 0
; COMPUTE_PGM_RSRC2:TGID_Z_EN: 0
; COMPUTE_PGM_RSRC2:TIDIG_COMP_CNT: 2
	.section	.text._Z6kernelI9histogramILN6hipcub23BlockHistogramAlgorithmE1EEyLj256ELj8ELj256ELj100EEvPKT0_PS4_,"axG",@progbits,_Z6kernelI9histogramILN6hipcub23BlockHistogramAlgorithmE1EEyLj256ELj8ELj256ELj100EEvPKT0_PS4_,comdat
	.protected	_Z6kernelI9histogramILN6hipcub23BlockHistogramAlgorithmE1EEyLj256ELj8ELj256ELj100EEvPKT0_PS4_ ; -- Begin function _Z6kernelI9histogramILN6hipcub23BlockHistogramAlgorithmE1EEyLj256ELj8ELj256ELj100EEvPKT0_PS4_
	.globl	_Z6kernelI9histogramILN6hipcub23BlockHistogramAlgorithmE1EEyLj256ELj8ELj256ELj100EEvPKT0_PS4_
	.p2align	8
	.type	_Z6kernelI9histogramILN6hipcub23BlockHistogramAlgorithmE1EEyLj256ELj8ELj256ELj100EEvPKT0_PS4_,@function
_Z6kernelI9histogramILN6hipcub23BlockHistogramAlgorithmE1EEyLj256ELj8ELj256ELj100EEvPKT0_PS4_: ; @_Z6kernelI9histogramILN6hipcub23BlockHistogramAlgorithmE1EEyLj256ELj8ELj256ELj100EEvPKT0_PS4_
; %bb.0:
	v_dual_mov_b32 v18, 0 :: v_dual_and_b32 v17, 0x3ff, v0
	s_clause 0x1
	s_load_b128 s[16:19], s[0:1], 0x0
	s_load_b32 s1, s[0:1], 0x1c
	v_mbcnt_lo_u32_b32 v21, -1, 0
	v_dual_mov_b32 v2, v18 :: v_dual_lshlrev_b32 v35, 3, v17
	v_and_b32_e32 v22, 0xe0, v17
	v_bfe_u32 v20, v0, 10, 10
	v_bfe_u32 v0, v0, 20, 10
	s_delay_alu instid0(VALU_DEP_4)
	v_lshl_or_b32 v1, s15, 11, v35
	v_and_or_b32 v23, 0x700, v35, v21
	v_or_b32_e32 v19, v21, v22
	v_lshlrev_b32_e32 v38, 5, v17
	v_or_b32_e32 v22, 31, v22
	v_lshlrev_b64 v[1:2], 3, v[1:2]
	v_cmp_gt_u32_e64 s0, 0x100, v17
	v_lshlrev_b32_e32 v36, 6, v19
	v_mad_i32_i24 v49, 0xffffffe4, v17, v38
	v_or_b32_e32 v39, 1, v35
	v_add_nc_u32_e32 v40, 32, v38
	v_or_b32_e32 v41, 2, v35
	s_waitcnt lgkmcnt(0)
	v_add_co_u32 v13, vcc_lo, s16, v1
	v_add_co_ci_u32_e32 v14, vcc_lo, s17, v2, vcc_lo
	s_lshr_b32 s2, s1, 16
	s_and_b32 s1, s1, 0xffff
	s_clause 0x3
	global_load_b128 v[1:4], v[13:14], off offset:48
	global_load_b128 v[5:8], v[13:14], off offset:32
	;; [unrolled: 1-line block ×3, first 2 shown]
	global_load_b128 v[13:16], v[13:14], off
	v_mad_u32_u24 v0, v0, s2, v20
	v_mad_u32_u24 v51, v17, 60, v49
	v_or_b32_e32 v42, 3, v35
	v_or_b32_e32 v43, 4, v35
	;; [unrolled: 1-line block ×3, first 2 shown]
	v_mad_u64_u32 v[19:20], null, v0, s1, v[17:18]
	v_and_b32_e32 v0, 15, v21
	v_mov_b32_e32 v56, 0x800
	v_and_b32_e32 v20, 16, v21
	v_mad_i32_i24 v53, 0xffffffc8, v17, v51
	v_or_b32_e32 v45, 6, v35
	v_cmp_eq_u32_e64 s1, 0, v0
	v_lshrrev_b32_e32 v47, 5, v19
	v_add_nc_u32_e32 v19, -1, v21
	v_cmp_lt_u32_e64 s2, 1, v0
	v_cmp_lt_u32_e64 s3, 3, v0
	;; [unrolled: 1-line block ×3, first 2 shown]
	v_or_b32_e32 v46, 7, v35
	v_cmp_gt_i32_e32 vcc_lo, 0, v19
	v_lshlrev_b32_e32 v37, 3, v23
	v_cmp_eq_u32_e64 s5, 0, v20
	v_cmp_eq_u32_e64 s6, v22, v17
	v_cmp_gt_u32_e64 s7, 8, v17
	v_cndmask_b32_e32 v0, v19, v21, vcc_lo
	v_and_b32_e32 v19, 7, v21
	v_cmp_lt_u32_e64 s8, 31, v17
	v_cmp_eq_u32_e64 s9, 0, v21
	v_cmp_eq_u32_e64 s10, 0, v17
	v_lshlrev_b32_e32 v48, 2, v0
	v_lshrrev_b32_e32 v0, 3, v17
	v_cmp_ne_u32_e64 s11, 0, v17
	v_cmp_eq_u32_e64 s12, 0, v19
	v_cmp_lt_u32_e64 s13, 1, v19
	v_cmp_lt_u32_e64 s14, 3, v19
	v_and_b32_e32 v52, 28, v0
	v_lshlrev_b32_e32 v0, 2, v17
	v_or_b32_e32 v50, 0x4000, v35
	v_add_nc_u32_e32 v55, -8, v53
	s_mov_b32 s20, 0
	v_add_nc_u32_e32 v54, -4, v52
	v_sub_nc_u32_e32 v0, 0, v0
	s_mov_b32 s21, s20
	s_mov_b32 s22, s20
	;; [unrolled: 1-line block ×4, first 2 shown]
	v_add_nc_u32_e32 v57, v53, v0
	s_branch .LBB52_2
.LBB52_1:                               ;   in Loop: Header=BB52_2 Depth=1
	s_or_b32 exec_lo, exec_lo, s16
	s_add_i32 s17, s17, 1
	s_delay_alu instid0(SALU_CYCLE_1)
	s_cmpk_eq_i32 s17, 0x64
	s_cbranch_scc1 .LBB52_53
.LBB52_2:                               ; =>This Loop Header: Depth=1
                                        ;     Child Loop BB52_6 Depth 2
	s_and_saveexec_b32 s16, s0
	s_cbranch_execz .LBB52_4
; %bb.3:                                ;   in Loop: Header=BB52_2 Depth=1
	v_mov_b32_e32 v19, v18
	ds_store_b64 v50, v[18:19]
.LBB52_4:                               ;   in Loop: Header=BB52_2 Depth=1
	s_or_b32 exec_lo, exec_lo, s16
	s_waitcnt vmcnt(0) lgkmcnt(0)
	s_barrier
	buffer_gl0_inv
	ds_store_2addr_b64 v36, v[13:14], v[15:16] offset1:1
	ds_store_2addr_b64 v36, v[9:10], v[11:12] offset0:2 offset1:3
	ds_store_2addr_b64 v36, v[5:6], v[7:8] offset0:4 offset1:5
	;; [unrolled: 1-line block ×3, first 2 shown]
	; wave barrier
	ds_load_2addr_b64 v[0:3], v37 offset1:32
	ds_load_2addr_b64 v[4:7], v37 offset0:64 offset1:96
	ds_load_2addr_b64 v[8:11], v37 offset0:128 offset1:160
	;; [unrolled: 1-line block ×3, first 2 shown]
	s_mov_b64 s[24:25], 0
	s_waitcnt lgkmcnt(0)
	s_barrier
	buffer_gl0_inv
	; wave barrier
	s_barrier
	s_branch .LBB52_6
.LBB52_5:                               ;   in Loop: Header=BB52_6 Depth=2
	v_lshlrev_b32_e32 v0, 3, v71
	v_lshlrev_b32_e32 v1, 3, v68
	;; [unrolled: 1-line block ×3, first 2 shown]
	s_barrier
	buffer_gl0_inv
	ds_store_b64 v0, v[19:20]
	ds_store_b64 v1, v[33:34]
	;; [unrolled: 1-line block ×3, first 2 shown]
	v_lshlrev_b32_e32 v0, 3, v62
	v_lshlrev_b32_e32 v1, 3, v60
	;; [unrolled: 1-line block ×5, first 2 shown]
	ds_store_b64 v0, v[21:22]
	ds_store_b64 v1, v[27:28]
	ds_store_b64 v2, v[25:26]
	ds_store_b64 v3, v[23:24]
	ds_store_b64 v4, v[29:30]
	s_waitcnt lgkmcnt(0)
	s_barrier
	buffer_gl0_inv
	ds_load_2addr_b64 v[0:3], v37 offset1:32
	ds_load_2addr_b64 v[4:7], v37 offset0:64 offset1:96
	ds_load_2addr_b64 v[8:11], v37 offset0:128 offset1:160
	;; [unrolled: 1-line block ×3, first 2 shown]
	s_add_u32 s24, s24, 8
	s_addc_u32 s25, s25, 0
	s_waitcnt lgkmcnt(0)
	s_barrier
	s_cbranch_execz .LBB52_30
.LBB52_6:                               ;   Parent Loop BB52_2 Depth=1
                                        ; =>  This Inner Loop Header: Depth=2
	v_dual_mov_b32 v20, v1 :: v_dual_mov_b32 v19, v0
	v_mov_b32_e32 v30, v15
	buffer_gl0_inv
	v_mov_b32_e32 v34, v3
	v_mov_b32_e32 v32, v5
	v_lshrrev_b64 v[58:59], s24, v[19:20]
	v_dual_mov_b32 v28, v9 :: v_dual_mov_b32 v33, v2
	v_mov_b32_e32 v31, v4
	v_mov_b32_e32 v27, v8
	s_delay_alu instid0(VALU_DEP_4)
	v_dual_mov_b32 v29, v14 :: v_dual_and_b32 v0, 1, v58
	v_lshlrev_b32_e32 v1, 30, v58
	v_lshlrev_b32_e32 v16, 29, v58
	v_lshlrev_b32_e32 v21, 28, v58
	v_lshlrev_b32_e32 v23, 27, v58
	v_add_co_u32 v0, s16, v0, -1
	s_delay_alu instid0(VALU_DEP_1)
	v_cndmask_b32_e64 v22, 0, 1, s16
	v_not_b32_e32 v26, v1
	v_cmp_gt_i32_e64 s16, 0, v1
	v_not_b32_e32 v1, v16
	v_lshlrev_b32_e32 v24, 26, v58
	v_cmp_ne_u32_e32 vcc_lo, 0, v22
	v_ashrrev_i32_e32 v26, 31, v26
	v_lshlrev_b32_e32 v25, 25, v58
	v_ashrrev_i32_e32 v1, 31, v1
	v_lshlrev_b32_e32 v22, 24, v58
	v_xor_b32_e32 v0, vcc_lo, v0
	v_cmp_gt_i32_e32 vcc_lo, 0, v16
	v_not_b32_e32 v16, v21
	v_xor_b32_e32 v26, s16, v26
	v_cmp_gt_i32_e64 s16, 0, v21
	v_and_b32_e32 v0, exec_lo, v0
	v_not_b32_e32 v21, v23
	v_ashrrev_i32_e32 v16, 31, v16
	v_xor_b32_e32 v1, vcc_lo, v1
	v_cmp_gt_i32_e32 vcc_lo, 0, v23
	v_and_b32_e32 v0, v0, v26
	v_not_b32_e32 v23, v24
	v_ashrrev_i32_e32 v21, 31, v21
	v_xor_b32_e32 v16, s16, v16
	v_cmp_gt_i32_e64 s16, 0, v24
	v_and_b32_e32 v0, v0, v1
	v_not_b32_e32 v1, v25
	v_ashrrev_i32_e32 v23, 31, v23
	v_xor_b32_e32 v21, vcc_lo, v21
	v_cmp_gt_i32_e32 vcc_lo, 0, v25
	v_and_b32_e32 v0, v0, v16
	v_not_b32_e32 v16, v22
	v_ashrrev_i32_e32 v1, 31, v1
	v_xor_b32_e32 v23, s16, v23
	v_cmp_gt_i32_e64 s16, 0, v22
	v_and_b32_e32 v0, v0, v21
	v_ashrrev_i32_e32 v16, 31, v16
	v_xor_b32_e32 v1, vcc_lo, v1
	v_dual_mov_b32 v22, v7 :: v_dual_and_b32 v5, 0xff, v58
	s_delay_alu instid0(VALU_DEP_4) | instskip(NEXT) | instid1(VALU_DEP_4)
	v_and_b32_e32 v0, v0, v23
	v_xor_b32_e32 v3, s16, v16
	v_mov_b32_e32 v24, v13
	v_dual_mov_b32 v26, v11 :: v_dual_mov_b32 v23, v12
	s_delay_alu instid0(VALU_DEP_4) | instskip(SKIP_1) | instid1(VALU_DEP_2)
	v_dual_mov_b32 v1, s20 :: v_dual_and_b32 v0, v0, v1
	v_dual_mov_b32 v2, s21 :: v_dual_mov_b32 v21, v6
	v_dual_mov_b32 v25, v10 :: v_dual_and_b32 v0, v0, v3
	v_dual_mov_b32 v3, s22 :: v_dual_mov_b32 v4, s23
	ds_store_2addr_b64 v38, v[1:2], v[3:4] offset0:4 offset1:5
	ds_store_2addr_b64 v40, v[1:2], v[3:4] offset0:2 offset1:3
	v_mbcnt_lo_u32_b32 v8, v0, 0
	v_lshl_add_u32 v1, v5, 3, v47
	v_cmp_ne_u32_e64 s16, 0, v0
	s_waitcnt lgkmcnt(0)
	s_barrier
	v_cmp_eq_u32_e32 vcc_lo, 0, v8
	v_lshl_add_u32 v9, v1, 2, 32
	buffer_gl0_inv
	; wave barrier
	s_and_b32 s26, s16, vcc_lo
	s_delay_alu instid0(SALU_CYCLE_1)
	s_and_saveexec_b32 s16, s26
	s_cbranch_execz .LBB52_8
; %bb.7:                                ;   in Loop: Header=BB52_6 Depth=2
	v_bcnt_u32_b32 v0, v0, 0
	ds_store_b32 v9, v0
.LBB52_8:                               ;   in Loop: Header=BB52_6 Depth=2
	s_or_b32 exec_lo, exec_lo, s16
	v_lshrrev_b64 v[0:1], s24, v[33:34]
	; wave barrier
	s_delay_alu instid0(VALU_DEP_1)
	v_and_b32_e32 v2, 1, v0
	v_lshlrev_b32_e32 v3, 30, v0
	v_lshlrev_b32_e32 v4, 29, v0
	;; [unrolled: 1-line block ×4, first 2 shown]
	v_add_co_u32 v2, s16, v2, -1
	s_delay_alu instid0(VALU_DEP_1)
	v_cndmask_b32_e64 v6, 0, 1, s16
	v_not_b32_e32 v12, v3
	v_cmp_gt_i32_e64 s16, 0, v3
	v_not_b32_e32 v3, v4
	v_lshlrev_b32_e32 v10, 26, v0
	v_cmp_ne_u32_e32 vcc_lo, 0, v6
	v_ashrrev_i32_e32 v6, 31, v12
	v_lshlrev_b32_e32 v11, 25, v0
	v_ashrrev_i32_e32 v3, 31, v3
	v_and_b32_e32 v1, 0xff, v0
	v_xor_b32_e32 v2, vcc_lo, v2
	v_cmp_gt_i32_e32 vcc_lo, 0, v4
	v_not_b32_e32 v4, v5
	v_xor_b32_e32 v6, s16, v6
	v_cmp_gt_i32_e64 s16, 0, v5
	v_and_b32_e32 v2, exec_lo, v2
	v_not_b32_e32 v5, v7
	v_ashrrev_i32_e32 v4, 31, v4
	v_xor_b32_e32 v3, vcc_lo, v3
	v_cmp_gt_i32_e32 vcc_lo, 0, v7
	v_and_b32_e32 v2, v2, v6
	v_not_b32_e32 v6, v10
	v_ashrrev_i32_e32 v5, 31, v5
	v_xor_b32_e32 v4, s16, v4
	v_lshlrev_b32_e32 v0, 24, v0
	v_and_b32_e32 v2, v2, v3
	v_cmp_gt_i32_e64 s16, 0, v10
	v_not_b32_e32 v3, v11
	v_ashrrev_i32_e32 v6, 31, v6
	v_xor_b32_e32 v5, vcc_lo, v5
	v_and_b32_e32 v2, v2, v4
	v_cmp_gt_i32_e32 vcc_lo, 0, v11
	v_not_b32_e32 v4, v0
	v_ashrrev_i32_e32 v3, 31, v3
	v_xor_b32_e32 v6, s16, v6
	v_and_b32_e32 v2, v2, v5
	v_lshlrev_b32_e32 v1, 3, v1
	v_cmp_gt_i32_e64 s16, 0, v0
	v_ashrrev_i32_e32 v0, 31, v4
	v_xor_b32_e32 v3, vcc_lo, v3
	v_and_b32_e32 v2, v2, v6
	v_add_lshl_u32 v1, v1, v47, 2
	s_delay_alu instid0(VALU_DEP_4) | instskip(NEXT) | instid1(VALU_DEP_3)
	v_xor_b32_e32 v0, s16, v0
	v_and_b32_e32 v2, v2, v3
	ds_load_b32 v10, v1 offset:32
	v_add_nc_u32_e32 v12, 32, v1
	; wave barrier
	v_and_b32_e32 v0, v2, v0
	s_delay_alu instid0(VALU_DEP_1) | instskip(SKIP_1) | instid1(VALU_DEP_2)
	v_mbcnt_lo_u32_b32 v11, v0, 0
	v_cmp_ne_u32_e64 s16, 0, v0
	v_cmp_eq_u32_e32 vcc_lo, 0, v11
	s_delay_alu instid0(VALU_DEP_2) | instskip(NEXT) | instid1(SALU_CYCLE_1)
	s_and_b32 s26, s16, vcc_lo
	s_and_saveexec_b32 s16, s26
	s_cbranch_execz .LBB52_10
; %bb.9:                                ;   in Loop: Header=BB52_6 Depth=2
	s_waitcnt lgkmcnt(0)
	v_bcnt_u32_b32 v0, v0, v10
	ds_store_b32 v12, v0
.LBB52_10:                              ;   in Loop: Header=BB52_6 Depth=2
	s_or_b32 exec_lo, exec_lo, s16
	v_lshrrev_b64 v[0:1], s24, v[31:32]
	; wave barrier
	s_delay_alu instid0(VALU_DEP_1)
	v_and_b32_e32 v2, 1, v0
	v_lshlrev_b32_e32 v3, 30, v0
	v_lshlrev_b32_e32 v4, 29, v0
	;; [unrolled: 1-line block ×4, first 2 shown]
	v_add_co_u32 v2, s16, v2, -1
	s_delay_alu instid0(VALU_DEP_1)
	v_cndmask_b32_e64 v6, 0, 1, s16
	v_not_b32_e32 v15, v3
	v_cmp_gt_i32_e64 s16, 0, v3
	v_not_b32_e32 v3, v4
	v_lshlrev_b32_e32 v13, 26, v0
	v_cmp_ne_u32_e32 vcc_lo, 0, v6
	v_ashrrev_i32_e32 v6, 31, v15
	v_lshlrev_b32_e32 v14, 25, v0
	v_ashrrev_i32_e32 v3, 31, v3
	v_and_b32_e32 v1, 0xff, v0
	v_xor_b32_e32 v2, vcc_lo, v2
	v_cmp_gt_i32_e32 vcc_lo, 0, v4
	v_not_b32_e32 v4, v5
	v_xor_b32_e32 v6, s16, v6
	v_cmp_gt_i32_e64 s16, 0, v5
	v_and_b32_e32 v2, exec_lo, v2
	v_not_b32_e32 v5, v7
	v_ashrrev_i32_e32 v4, 31, v4
	v_xor_b32_e32 v3, vcc_lo, v3
	v_cmp_gt_i32_e32 vcc_lo, 0, v7
	v_and_b32_e32 v2, v2, v6
	v_not_b32_e32 v6, v13
	v_ashrrev_i32_e32 v5, 31, v5
	v_xor_b32_e32 v4, s16, v4
	v_lshlrev_b32_e32 v0, 24, v0
	v_and_b32_e32 v2, v2, v3
	v_cmp_gt_i32_e64 s16, 0, v13
	v_not_b32_e32 v3, v14
	v_ashrrev_i32_e32 v6, 31, v6
	v_xor_b32_e32 v5, vcc_lo, v5
	v_and_b32_e32 v2, v2, v4
	v_cmp_gt_i32_e32 vcc_lo, 0, v14
	v_not_b32_e32 v4, v0
	v_ashrrev_i32_e32 v3, 31, v3
	v_xor_b32_e32 v6, s16, v6
	v_and_b32_e32 v2, v2, v5
	v_lshlrev_b32_e32 v1, 3, v1
	v_cmp_gt_i32_e64 s16, 0, v0
	v_ashrrev_i32_e32 v0, 31, v4
	v_xor_b32_e32 v3, vcc_lo, v3
	v_and_b32_e32 v2, v2, v6
	v_add_lshl_u32 v1, v1, v47, 2
	s_delay_alu instid0(VALU_DEP_4) | instskip(NEXT) | instid1(VALU_DEP_3)
	v_xor_b32_e32 v0, s16, v0
	v_and_b32_e32 v2, v2, v3
	ds_load_b32 v13, v1 offset:32
	v_add_nc_u32_e32 v15, 32, v1
	; wave barrier
	v_and_b32_e32 v0, v2, v0
	s_delay_alu instid0(VALU_DEP_1) | instskip(SKIP_1) | instid1(VALU_DEP_2)
	v_mbcnt_lo_u32_b32 v14, v0, 0
	v_cmp_ne_u32_e64 s16, 0, v0
	v_cmp_eq_u32_e32 vcc_lo, 0, v14
	s_delay_alu instid0(VALU_DEP_2) | instskip(NEXT) | instid1(SALU_CYCLE_1)
	s_and_b32 s26, s16, vcc_lo
	s_and_saveexec_b32 s16, s26
	s_cbranch_execz .LBB52_12
; %bb.11:                               ;   in Loop: Header=BB52_6 Depth=2
	s_waitcnt lgkmcnt(0)
	v_bcnt_u32_b32 v0, v0, v13
	ds_store_b32 v15, v0
.LBB52_12:                              ;   in Loop: Header=BB52_6 Depth=2
	s_or_b32 exec_lo, exec_lo, s16
	v_lshrrev_b64 v[0:1], s24, v[21:22]
	; wave barrier
	s_delay_alu instid0(VALU_DEP_1)
	v_and_b32_e32 v2, 1, v0
	v_lshlrev_b32_e32 v3, 30, v0
	v_lshlrev_b32_e32 v4, 29, v0
	;; [unrolled: 1-line block ×4, first 2 shown]
	v_add_co_u32 v2, s16, v2, -1
	s_delay_alu instid0(VALU_DEP_1)
	v_cndmask_b32_e64 v6, 0, 1, s16
	v_not_b32_e32 v59, v3
	v_cmp_gt_i32_e64 s16, 0, v3
	v_not_b32_e32 v3, v4
	v_lshlrev_b32_e32 v16, 26, v0
	v_cmp_ne_u32_e32 vcc_lo, 0, v6
	v_ashrrev_i32_e32 v6, 31, v59
	v_lshlrev_b32_e32 v58, 25, v0
	v_ashrrev_i32_e32 v3, 31, v3
	v_and_b32_e32 v1, 0xff, v0
	v_xor_b32_e32 v2, vcc_lo, v2
	v_cmp_gt_i32_e32 vcc_lo, 0, v4
	v_not_b32_e32 v4, v5
	v_xor_b32_e32 v6, s16, v6
	v_cmp_gt_i32_e64 s16, 0, v5
	v_and_b32_e32 v2, exec_lo, v2
	v_not_b32_e32 v5, v7
	v_ashrrev_i32_e32 v4, 31, v4
	v_xor_b32_e32 v3, vcc_lo, v3
	v_cmp_gt_i32_e32 vcc_lo, 0, v7
	v_and_b32_e32 v2, v2, v6
	v_not_b32_e32 v6, v16
	v_ashrrev_i32_e32 v5, 31, v5
	v_xor_b32_e32 v4, s16, v4
	v_lshlrev_b32_e32 v0, 24, v0
	v_and_b32_e32 v2, v2, v3
	v_cmp_gt_i32_e64 s16, 0, v16
	v_not_b32_e32 v3, v58
	v_ashrrev_i32_e32 v6, 31, v6
	v_xor_b32_e32 v5, vcc_lo, v5
	v_and_b32_e32 v2, v2, v4
	v_cmp_gt_i32_e32 vcc_lo, 0, v58
	v_not_b32_e32 v4, v0
	v_ashrrev_i32_e32 v3, 31, v3
	v_xor_b32_e32 v6, s16, v6
	v_and_b32_e32 v2, v2, v5
	v_lshlrev_b32_e32 v1, 3, v1
	v_cmp_gt_i32_e64 s16, 0, v0
	v_ashrrev_i32_e32 v0, 31, v4
	v_xor_b32_e32 v3, vcc_lo, v3
	v_and_b32_e32 v2, v2, v6
	v_add_lshl_u32 v1, v1, v47, 2
	s_delay_alu instid0(VALU_DEP_4) | instskip(NEXT) | instid1(VALU_DEP_3)
	v_xor_b32_e32 v0, s16, v0
	v_and_b32_e32 v2, v2, v3
	ds_load_b32 v16, v1 offset:32
	v_add_nc_u32_e32 v59, 32, v1
	; wave barrier
	v_and_b32_e32 v0, v2, v0
	s_delay_alu instid0(VALU_DEP_1) | instskip(SKIP_1) | instid1(VALU_DEP_2)
	v_mbcnt_lo_u32_b32 v58, v0, 0
	v_cmp_ne_u32_e64 s16, 0, v0
	v_cmp_eq_u32_e32 vcc_lo, 0, v58
	s_delay_alu instid0(VALU_DEP_2) | instskip(NEXT) | instid1(SALU_CYCLE_1)
	s_and_b32 s26, s16, vcc_lo
	s_and_saveexec_b32 s16, s26
	s_cbranch_execz .LBB52_14
; %bb.13:                               ;   in Loop: Header=BB52_6 Depth=2
	s_waitcnt lgkmcnt(0)
	v_bcnt_u32_b32 v0, v0, v16
	ds_store_b32 v59, v0
.LBB52_14:                              ;   in Loop: Header=BB52_6 Depth=2
	s_or_b32 exec_lo, exec_lo, s16
	v_lshrrev_b64 v[0:1], s24, v[27:28]
	; wave barrier
	s_delay_alu instid0(VALU_DEP_1)
	v_and_b32_e32 v2, 1, v0
	v_lshlrev_b32_e32 v3, 30, v0
	v_lshlrev_b32_e32 v4, 29, v0
	;; [unrolled: 1-line block ×4, first 2 shown]
	v_add_co_u32 v2, s16, v2, -1
	s_delay_alu instid0(VALU_DEP_1)
	v_cndmask_b32_e64 v6, 0, 1, s16
	v_not_b32_e32 v62, v3
	v_cmp_gt_i32_e64 s16, 0, v3
	v_not_b32_e32 v3, v4
	v_lshlrev_b32_e32 v60, 26, v0
	v_cmp_ne_u32_e32 vcc_lo, 0, v6
	v_ashrrev_i32_e32 v6, 31, v62
	v_lshlrev_b32_e32 v61, 25, v0
	v_ashrrev_i32_e32 v3, 31, v3
	v_and_b32_e32 v1, 0xff, v0
	v_xor_b32_e32 v2, vcc_lo, v2
	v_cmp_gt_i32_e32 vcc_lo, 0, v4
	v_not_b32_e32 v4, v5
	v_xor_b32_e32 v6, s16, v6
	v_cmp_gt_i32_e64 s16, 0, v5
	v_and_b32_e32 v2, exec_lo, v2
	v_not_b32_e32 v5, v7
	v_ashrrev_i32_e32 v4, 31, v4
	v_xor_b32_e32 v3, vcc_lo, v3
	v_cmp_gt_i32_e32 vcc_lo, 0, v7
	v_and_b32_e32 v2, v2, v6
	v_not_b32_e32 v6, v60
	v_ashrrev_i32_e32 v5, 31, v5
	v_xor_b32_e32 v4, s16, v4
	v_lshlrev_b32_e32 v0, 24, v0
	v_and_b32_e32 v2, v2, v3
	v_cmp_gt_i32_e64 s16, 0, v60
	v_not_b32_e32 v3, v61
	v_ashrrev_i32_e32 v6, 31, v6
	v_xor_b32_e32 v5, vcc_lo, v5
	v_and_b32_e32 v2, v2, v4
	v_cmp_gt_i32_e32 vcc_lo, 0, v61
	v_not_b32_e32 v4, v0
	v_ashrrev_i32_e32 v3, 31, v3
	v_xor_b32_e32 v6, s16, v6
	v_and_b32_e32 v2, v2, v5
	v_lshlrev_b32_e32 v1, 3, v1
	v_cmp_gt_i32_e64 s16, 0, v0
	v_ashrrev_i32_e32 v0, 31, v4
	v_xor_b32_e32 v3, vcc_lo, v3
	v_and_b32_e32 v2, v2, v6
	v_add_lshl_u32 v1, v1, v47, 2
	s_delay_alu instid0(VALU_DEP_4) | instskip(NEXT) | instid1(VALU_DEP_3)
	v_xor_b32_e32 v0, s16, v0
	v_and_b32_e32 v2, v2, v3
	ds_load_b32 v60, v1 offset:32
	v_add_nc_u32_e32 v62, 32, v1
	; wave barrier
	v_and_b32_e32 v0, v2, v0
	s_delay_alu instid0(VALU_DEP_1) | instskip(SKIP_1) | instid1(VALU_DEP_2)
	v_mbcnt_lo_u32_b32 v61, v0, 0
	v_cmp_ne_u32_e64 s16, 0, v0
	v_cmp_eq_u32_e32 vcc_lo, 0, v61
	s_delay_alu instid0(VALU_DEP_2) | instskip(NEXT) | instid1(SALU_CYCLE_1)
	s_and_b32 s26, s16, vcc_lo
	s_and_saveexec_b32 s16, s26
	s_cbranch_execz .LBB52_16
; %bb.15:                               ;   in Loop: Header=BB52_6 Depth=2
	s_waitcnt lgkmcnt(0)
	v_bcnt_u32_b32 v0, v0, v60
	ds_store_b32 v62, v0
.LBB52_16:                              ;   in Loop: Header=BB52_6 Depth=2
	s_or_b32 exec_lo, exec_lo, s16
	v_lshrrev_b64 v[0:1], s24, v[25:26]
	; wave barrier
	s_delay_alu instid0(VALU_DEP_1)
	v_and_b32_e32 v2, 1, v0
	v_lshlrev_b32_e32 v3, 30, v0
	v_lshlrev_b32_e32 v4, 29, v0
	;; [unrolled: 1-line block ×4, first 2 shown]
	v_add_co_u32 v2, s16, v2, -1
	s_delay_alu instid0(VALU_DEP_1)
	v_cndmask_b32_e64 v6, 0, 1, s16
	v_not_b32_e32 v65, v3
	v_cmp_gt_i32_e64 s16, 0, v3
	v_not_b32_e32 v3, v4
	v_lshlrev_b32_e32 v63, 26, v0
	v_cmp_ne_u32_e32 vcc_lo, 0, v6
	v_ashrrev_i32_e32 v6, 31, v65
	v_lshlrev_b32_e32 v64, 25, v0
	v_ashrrev_i32_e32 v3, 31, v3
	v_and_b32_e32 v1, 0xff, v0
	v_xor_b32_e32 v2, vcc_lo, v2
	v_cmp_gt_i32_e32 vcc_lo, 0, v4
	v_not_b32_e32 v4, v5
	v_xor_b32_e32 v6, s16, v6
	v_cmp_gt_i32_e64 s16, 0, v5
	v_and_b32_e32 v2, exec_lo, v2
	v_not_b32_e32 v5, v7
	v_ashrrev_i32_e32 v4, 31, v4
	v_xor_b32_e32 v3, vcc_lo, v3
	v_cmp_gt_i32_e32 vcc_lo, 0, v7
	v_and_b32_e32 v2, v2, v6
	v_not_b32_e32 v6, v63
	v_ashrrev_i32_e32 v5, 31, v5
	v_xor_b32_e32 v4, s16, v4
	v_lshlrev_b32_e32 v0, 24, v0
	v_and_b32_e32 v2, v2, v3
	v_cmp_gt_i32_e64 s16, 0, v63
	v_not_b32_e32 v3, v64
	v_ashrrev_i32_e32 v6, 31, v6
	v_xor_b32_e32 v5, vcc_lo, v5
	v_and_b32_e32 v2, v2, v4
	v_cmp_gt_i32_e32 vcc_lo, 0, v64
	v_not_b32_e32 v4, v0
	v_ashrrev_i32_e32 v3, 31, v3
	v_xor_b32_e32 v6, s16, v6
	v_and_b32_e32 v2, v2, v5
	v_lshlrev_b32_e32 v1, 3, v1
	v_cmp_gt_i32_e64 s16, 0, v0
	v_ashrrev_i32_e32 v0, 31, v4
	v_xor_b32_e32 v3, vcc_lo, v3
	v_and_b32_e32 v2, v2, v6
	v_add_lshl_u32 v1, v1, v47, 2
	s_delay_alu instid0(VALU_DEP_4) | instskip(NEXT) | instid1(VALU_DEP_3)
	v_xor_b32_e32 v0, s16, v0
	v_and_b32_e32 v2, v2, v3
	ds_load_b32 v63, v1 offset:32
	v_add_nc_u32_e32 v65, 32, v1
	; wave barrier
	v_and_b32_e32 v0, v2, v0
	s_delay_alu instid0(VALU_DEP_1) | instskip(SKIP_1) | instid1(VALU_DEP_2)
	v_mbcnt_lo_u32_b32 v64, v0, 0
	v_cmp_ne_u32_e64 s16, 0, v0
	v_cmp_eq_u32_e32 vcc_lo, 0, v64
	s_delay_alu instid0(VALU_DEP_2) | instskip(NEXT) | instid1(SALU_CYCLE_1)
	s_and_b32 s26, s16, vcc_lo
	s_and_saveexec_b32 s16, s26
	s_cbranch_execz .LBB52_18
; %bb.17:                               ;   in Loop: Header=BB52_6 Depth=2
	s_waitcnt lgkmcnt(0)
	v_bcnt_u32_b32 v0, v0, v63
	ds_store_b32 v65, v0
.LBB52_18:                              ;   in Loop: Header=BB52_6 Depth=2
	s_or_b32 exec_lo, exec_lo, s16
	v_lshrrev_b64 v[0:1], s24, v[23:24]
	; wave barrier
	s_delay_alu instid0(VALU_DEP_1)
	v_and_b32_e32 v2, 1, v0
	v_lshlrev_b32_e32 v3, 30, v0
	v_lshlrev_b32_e32 v4, 29, v0
	;; [unrolled: 1-line block ×4, first 2 shown]
	v_add_co_u32 v2, s16, v2, -1
	s_delay_alu instid0(VALU_DEP_1)
	v_cndmask_b32_e64 v6, 0, 1, s16
	v_not_b32_e32 v68, v3
	v_cmp_gt_i32_e64 s16, 0, v3
	v_not_b32_e32 v3, v4
	v_lshlrev_b32_e32 v66, 26, v0
	v_cmp_ne_u32_e32 vcc_lo, 0, v6
	v_ashrrev_i32_e32 v6, 31, v68
	v_lshlrev_b32_e32 v67, 25, v0
	v_ashrrev_i32_e32 v3, 31, v3
	v_and_b32_e32 v1, 0xff, v0
	v_xor_b32_e32 v2, vcc_lo, v2
	v_cmp_gt_i32_e32 vcc_lo, 0, v4
	v_not_b32_e32 v4, v5
	v_xor_b32_e32 v6, s16, v6
	v_cmp_gt_i32_e64 s16, 0, v5
	v_and_b32_e32 v2, exec_lo, v2
	v_not_b32_e32 v5, v7
	v_ashrrev_i32_e32 v4, 31, v4
	v_xor_b32_e32 v3, vcc_lo, v3
	v_cmp_gt_i32_e32 vcc_lo, 0, v7
	v_and_b32_e32 v2, v2, v6
	v_not_b32_e32 v6, v66
	v_ashrrev_i32_e32 v5, 31, v5
	v_xor_b32_e32 v4, s16, v4
	v_lshlrev_b32_e32 v0, 24, v0
	v_and_b32_e32 v2, v2, v3
	v_cmp_gt_i32_e64 s16, 0, v66
	v_not_b32_e32 v3, v67
	v_ashrrev_i32_e32 v6, 31, v6
	v_xor_b32_e32 v5, vcc_lo, v5
	v_and_b32_e32 v2, v2, v4
	v_cmp_gt_i32_e32 vcc_lo, 0, v67
	v_not_b32_e32 v4, v0
	v_ashrrev_i32_e32 v3, 31, v3
	v_xor_b32_e32 v6, s16, v6
	v_and_b32_e32 v2, v2, v5
	v_lshlrev_b32_e32 v1, 3, v1
	v_cmp_gt_i32_e64 s16, 0, v0
	v_ashrrev_i32_e32 v0, 31, v4
	v_xor_b32_e32 v3, vcc_lo, v3
	v_and_b32_e32 v2, v2, v6
	v_add_lshl_u32 v1, v1, v47, 2
	s_delay_alu instid0(VALU_DEP_4) | instskip(NEXT) | instid1(VALU_DEP_3)
	v_xor_b32_e32 v0, s16, v0
	v_and_b32_e32 v2, v2, v3
	ds_load_b32 v66, v1 offset:32
	v_add_nc_u32_e32 v68, 32, v1
	; wave barrier
	v_and_b32_e32 v0, v2, v0
	s_delay_alu instid0(VALU_DEP_1) | instskip(SKIP_1) | instid1(VALU_DEP_2)
	v_mbcnt_lo_u32_b32 v67, v0, 0
	v_cmp_ne_u32_e64 s16, 0, v0
	v_cmp_eq_u32_e32 vcc_lo, 0, v67
	s_delay_alu instid0(VALU_DEP_2) | instskip(NEXT) | instid1(SALU_CYCLE_1)
	s_and_b32 s26, s16, vcc_lo
	s_and_saveexec_b32 s16, s26
	s_cbranch_execz .LBB52_20
; %bb.19:                               ;   in Loop: Header=BB52_6 Depth=2
	s_waitcnt lgkmcnt(0)
	v_bcnt_u32_b32 v0, v0, v66
	ds_store_b32 v68, v0
.LBB52_20:                              ;   in Loop: Header=BB52_6 Depth=2
	s_or_b32 exec_lo, exec_lo, s16
	v_lshrrev_b64 v[0:1], s24, v[29:30]
	; wave barrier
	s_delay_alu instid0(VALU_DEP_1)
	v_and_b32_e32 v2, 1, v0
	v_lshlrev_b32_e32 v3, 30, v0
	v_lshlrev_b32_e32 v4, 29, v0
	;; [unrolled: 1-line block ×4, first 2 shown]
	v_add_co_u32 v2, s16, v2, -1
	s_delay_alu instid0(VALU_DEP_1)
	v_cndmask_b32_e64 v6, 0, 1, s16
	v_not_b32_e32 v71, v3
	v_cmp_gt_i32_e64 s16, 0, v3
	v_not_b32_e32 v3, v4
	v_lshlrev_b32_e32 v69, 26, v0
	v_cmp_ne_u32_e32 vcc_lo, 0, v6
	v_ashrrev_i32_e32 v6, 31, v71
	v_lshlrev_b32_e32 v70, 25, v0
	v_ashrrev_i32_e32 v3, 31, v3
	v_and_b32_e32 v1, 0xff, v0
	v_xor_b32_e32 v2, vcc_lo, v2
	v_cmp_gt_i32_e32 vcc_lo, 0, v4
	v_not_b32_e32 v4, v5
	v_xor_b32_e32 v6, s16, v6
	v_cmp_gt_i32_e64 s16, 0, v5
	v_and_b32_e32 v2, exec_lo, v2
	v_not_b32_e32 v5, v7
	v_ashrrev_i32_e32 v4, 31, v4
	v_xor_b32_e32 v3, vcc_lo, v3
	v_cmp_gt_i32_e32 vcc_lo, 0, v7
	v_and_b32_e32 v2, v2, v6
	v_not_b32_e32 v6, v69
	v_ashrrev_i32_e32 v5, 31, v5
	v_xor_b32_e32 v4, s16, v4
	v_lshlrev_b32_e32 v0, 24, v0
	v_and_b32_e32 v2, v2, v3
	v_cmp_gt_i32_e64 s16, 0, v69
	v_not_b32_e32 v3, v70
	v_ashrrev_i32_e32 v6, 31, v6
	v_xor_b32_e32 v5, vcc_lo, v5
	v_and_b32_e32 v2, v2, v4
	v_cmp_gt_i32_e32 vcc_lo, 0, v70
	v_not_b32_e32 v4, v0
	v_ashrrev_i32_e32 v3, 31, v3
	v_xor_b32_e32 v6, s16, v6
	v_and_b32_e32 v2, v2, v5
	v_lshlrev_b32_e32 v1, 3, v1
	v_cmp_gt_i32_e64 s16, 0, v0
	v_ashrrev_i32_e32 v0, 31, v4
	v_xor_b32_e32 v3, vcc_lo, v3
	v_and_b32_e32 v2, v2, v6
	v_add_lshl_u32 v1, v1, v47, 2
	s_delay_alu instid0(VALU_DEP_4) | instskip(NEXT) | instid1(VALU_DEP_3)
	v_xor_b32_e32 v0, s16, v0
	v_and_b32_e32 v2, v2, v3
	ds_load_b32 v69, v1 offset:32
	v_add_nc_u32_e32 v71, 32, v1
	; wave barrier
	v_and_b32_e32 v0, v2, v0
	s_delay_alu instid0(VALU_DEP_1) | instskip(SKIP_1) | instid1(VALU_DEP_2)
	v_mbcnt_lo_u32_b32 v70, v0, 0
	v_cmp_ne_u32_e64 s16, 0, v0
	v_cmp_eq_u32_e32 vcc_lo, 0, v70
	s_delay_alu instid0(VALU_DEP_2) | instskip(NEXT) | instid1(SALU_CYCLE_1)
	s_and_b32 s26, s16, vcc_lo
	s_and_saveexec_b32 s16, s26
	s_cbranch_execz .LBB52_22
; %bb.21:                               ;   in Loop: Header=BB52_6 Depth=2
	s_waitcnt lgkmcnt(0)
	v_bcnt_u32_b32 v0, v0, v69
	ds_store_b32 v71, v0
.LBB52_22:                              ;   in Loop: Header=BB52_6 Depth=2
	s_or_b32 exec_lo, exec_lo, s16
	; wave barrier
	s_waitcnt lgkmcnt(0)
	s_barrier
	buffer_gl0_inv
	ds_load_2addr_b64 v[4:7], v38 offset0:4 offset1:5
	ds_load_2addr_b64 v[0:3], v40 offset0:2 offset1:3
	s_waitcnt lgkmcnt(1)
	v_add_nc_u32_e32 v72, v5, v4
	s_delay_alu instid0(VALU_DEP_1) | instskip(SKIP_1) | instid1(VALU_DEP_1)
	v_add3_u32 v72, v72, v6, v7
	s_waitcnt lgkmcnt(0)
	v_add3_u32 v72, v72, v0, v1
	s_delay_alu instid0(VALU_DEP_1) | instskip(NEXT) | instid1(VALU_DEP_1)
	v_add3_u32 v3, v72, v2, v3
	v_mov_b32_dpp v72, v3 row_shr:1 row_mask:0xf bank_mask:0xf
	s_delay_alu instid0(VALU_DEP_1) | instskip(NEXT) | instid1(VALU_DEP_1)
	v_cndmask_b32_e64 v72, v72, 0, s1
	v_add_nc_u32_e32 v3, v72, v3
	s_delay_alu instid0(VALU_DEP_1) | instskip(NEXT) | instid1(VALU_DEP_1)
	v_mov_b32_dpp v72, v3 row_shr:2 row_mask:0xf bank_mask:0xf
	v_cndmask_b32_e64 v72, 0, v72, s2
	s_delay_alu instid0(VALU_DEP_1) | instskip(NEXT) | instid1(VALU_DEP_1)
	v_add_nc_u32_e32 v3, v3, v72
	v_mov_b32_dpp v72, v3 row_shr:4 row_mask:0xf bank_mask:0xf
	s_delay_alu instid0(VALU_DEP_1) | instskip(NEXT) | instid1(VALU_DEP_1)
	v_cndmask_b32_e64 v72, 0, v72, s3
	v_add_nc_u32_e32 v3, v3, v72
	s_delay_alu instid0(VALU_DEP_1) | instskip(NEXT) | instid1(VALU_DEP_1)
	v_mov_b32_dpp v72, v3 row_shr:8 row_mask:0xf bank_mask:0xf
	v_cndmask_b32_e64 v72, 0, v72, s4
	s_delay_alu instid0(VALU_DEP_1) | instskip(SKIP_3) | instid1(VALU_DEP_1)
	v_add_nc_u32_e32 v3, v3, v72
	ds_swizzle_b32 v72, v3 offset:swizzle(BROADCAST,32,15)
	s_waitcnt lgkmcnt(0)
	v_cndmask_b32_e64 v72, v72, 0, s5
	v_add_nc_u32_e32 v3, v3, v72
	s_and_saveexec_b32 s16, s6
	s_cbranch_execz .LBB52_24
; %bb.23:                               ;   in Loop: Header=BB52_6 Depth=2
	ds_store_b32 v52, v3
.LBB52_24:                              ;   in Loop: Header=BB52_6 Depth=2
	s_or_b32 exec_lo, exec_lo, s16
	s_waitcnt lgkmcnt(0)
	s_barrier
	buffer_gl0_inv
	s_and_saveexec_b32 s16, s7
	s_cbranch_execz .LBB52_26
; %bb.25:                               ;   in Loop: Header=BB52_6 Depth=2
	ds_load_b32 v72, v49
	s_waitcnt lgkmcnt(0)
	v_mov_b32_dpp v73, v72 row_shr:1 row_mask:0xf bank_mask:0xf
	s_delay_alu instid0(VALU_DEP_1) | instskip(NEXT) | instid1(VALU_DEP_1)
	v_cndmask_b32_e64 v73, v73, 0, s12
	v_add_nc_u32_e32 v72, v73, v72
	s_delay_alu instid0(VALU_DEP_1) | instskip(NEXT) | instid1(VALU_DEP_1)
	v_mov_b32_dpp v73, v72 row_shr:2 row_mask:0xf bank_mask:0xf
	v_cndmask_b32_e64 v73, 0, v73, s13
	s_delay_alu instid0(VALU_DEP_1) | instskip(NEXT) | instid1(VALU_DEP_1)
	v_add_nc_u32_e32 v72, v72, v73
	v_mov_b32_dpp v73, v72 row_shr:4 row_mask:0xf bank_mask:0xf
	s_delay_alu instid0(VALU_DEP_1) | instskip(NEXT) | instid1(VALU_DEP_1)
	v_cndmask_b32_e64 v73, 0, v73, s14
	v_add_nc_u32_e32 v72, v72, v73
	ds_store_b32 v49, v72
.LBB52_26:                              ;   in Loop: Header=BB52_6 Depth=2
	s_or_b32 exec_lo, exec_lo, s16
	v_mov_b32_e32 v72, 0
	s_waitcnt lgkmcnt(0)
	s_barrier
	buffer_gl0_inv
	s_and_saveexec_b32 s16, s8
	s_cbranch_execz .LBB52_28
; %bb.27:                               ;   in Loop: Header=BB52_6 Depth=2
	ds_load_b32 v72, v54
.LBB52_28:                              ;   in Loop: Header=BB52_6 Depth=2
	s_or_b32 exec_lo, exec_lo, s16
	s_waitcnt lgkmcnt(0)
	v_add_nc_u32_e32 v3, v72, v3
	s_cmp_gt_u32 s24, 55
	ds_bpermute_b32 v3, v48, v3
	s_waitcnt lgkmcnt(0)
	v_cndmask_b32_e64 v3, v3, v72, s9
	s_delay_alu instid0(VALU_DEP_1) | instskip(NEXT) | instid1(VALU_DEP_1)
	v_cndmask_b32_e64 v3, v3, 0, s10
	v_add_nc_u32_e32 v4, v3, v4
	s_delay_alu instid0(VALU_DEP_1) | instskip(NEXT) | instid1(VALU_DEP_1)
	v_add_nc_u32_e32 v5, v4, v5
	v_add_nc_u32_e32 v6, v5, v6
	s_delay_alu instid0(VALU_DEP_1) | instskip(NEXT) | instid1(VALU_DEP_1)
	v_add_nc_u32_e32 v72, v6, v7
	;; [unrolled: 3-line block ×3, first 2 shown]
	v_add_nc_u32_e32 v1, v0, v2
	ds_store_2addr_b64 v38, v[3:4], v[5:6] offset0:4 offset1:5
	ds_store_2addr_b64 v40, v[72:73], v[0:1] offset0:2 offset1:3
	s_waitcnt lgkmcnt(0)
	s_barrier
	buffer_gl0_inv
	ds_load_b32 v0, v9
	ds_load_b32 v1, v12
	;; [unrolled: 1-line block ×8, first 2 shown]
	s_waitcnt lgkmcnt(7)
	v_add_nc_u32_e32 v71, v0, v8
	s_waitcnt lgkmcnt(6)
	v_add3_u32 v68, v11, v10, v1
	s_waitcnt lgkmcnt(5)
	v_add3_u32 v65, v14, v13, v2
	;; [unrolled: 2-line block ×7, first 2 shown]
	s_cbranch_scc0 .LBB52_5
; %bb.29:                               ;   in Loop: Header=BB52_2 Depth=1
                                        ; implicit-def: $vgpr0_vgpr1
                                        ; implicit-def: $vgpr4_vgpr5
                                        ; implicit-def: $vgpr8_vgpr9
                                        ; implicit-def: $vgpr12_vgpr13
                                        ; implicit-def: $sgpr24_sgpr25
.LBB52_30:                              ;   in Loop: Header=BB52_2 Depth=1
	v_lshlrev_b32_e32 v0, 3, v71
	v_lshlrev_b32_e32 v1, 3, v68
	;; [unrolled: 1-line block ×3, first 2 shown]
	s_barrier
	buffer_gl0_inv
	ds_store_b64 v0, v[19:20]
	ds_store_b64 v1, v[33:34]
	;; [unrolled: 1-line block ×3, first 2 shown]
	v_lshlrev_b32_e32 v0, 3, v62
	v_lshlrev_b32_e32 v1, 3, v60
	;; [unrolled: 1-line block ×5, first 2 shown]
	ds_store_b64 v0, v[21:22]
	ds_store_b64 v1, v[27:28]
	;; [unrolled: 1-line block ×5, first 2 shown]
	s_waitcnt lgkmcnt(0)
	s_barrier
	buffer_gl0_inv
	ds_load_2addr_b64 v[13:16], v51 offset1:1
	ds_load_2addr_b64 v[9:12], v51 offset0:2 offset1:3
	ds_load_2addr_b64 v[5:8], v51 offset0:4 offset1:5
	;; [unrolled: 1-line block ×3, first 2 shown]
	s_waitcnt lgkmcnt(0)
	s_barrier
	buffer_gl0_inv
	s_and_saveexec_b32 s16, s0
	s_cbranch_execz .LBB52_32
; %bb.31:                               ;   in Loop: Header=BB52_2 Depth=1
	ds_store_2addr_stride64_b32 v57, v56, v56 offset0:16 offset1:20
.LBB52_32:                              ;   in Loop: Header=BB52_2 Depth=1
	s_or_b32 exec_lo, exec_lo, s16
	v_lshlrev_b32_e32 v19, 2, v1
	s_mov_b32 s16, exec_lo
	s_waitcnt lgkmcnt(0)
	s_barrier
	buffer_gl0_inv
	ds_store_b64 v53, v[3:4]
	v_cmpx_ne_u32_e64 v1, v3
	s_cbranch_execz .LBB52_34
; %bb.33:                               ;   in Loop: Header=BB52_2 Depth=1
	v_lshlrev_b32_e32 v0, 2, v3
	ds_store_b32 v0, v46 offset:4096
	ds_store_b32 v19, v46 offset:5120
.LBB52_34:                              ;   in Loop: Header=BB52_2 Depth=1
	s_or_b32 exec_lo, exec_lo, s16
	v_lshlrev_b32_e32 v20, 2, v7
	v_mov_b32_e32 v0, v1
	s_mov_b32 s16, exec_lo
	v_cmpx_ne_u32_e64 v1, v7
	s_cbranch_execz .LBB52_36
; %bb.35:                               ;   in Loop: Header=BB52_2 Depth=1
	v_mov_b32_e32 v0, v7
	ds_store_b32 v19, v45 offset:4096
	ds_store_b32 v20, v45 offset:5120
.LBB52_36:                              ;   in Loop: Header=BB52_2 Depth=1
	s_or_b32 exec_lo, exec_lo, s16
	v_lshlrev_b32_e32 v19, 2, v5
	s_mov_b32 s16, exec_lo
	v_cmpx_ne_u32_e64 v0, v5
	s_cbranch_execz .LBB52_38
; %bb.37:                               ;   in Loop: Header=BB52_2 Depth=1
	v_mov_b32_e32 v0, v5
	ds_store_b32 v20, v44 offset:4096
	ds_store_b32 v19, v44 offset:5120
.LBB52_38:                              ;   in Loop: Header=BB52_2 Depth=1
	s_or_b32 exec_lo, exec_lo, s16
	v_lshlrev_b32_e32 v20, 2, v11
	;; [unrolled: 10-line block ×4, first 2 shown]
	s_mov_b32 s16, exec_lo
	v_cmpx_ne_u32_e64 v0, v15
	s_cbranch_execz .LBB52_44
; %bb.43:                               ;   in Loop: Header=BB52_2 Depth=1
	v_mov_b32_e32 v0, v15
	ds_store_b32 v19, v41 offset:4096
	ds_store_b32 v20, v41 offset:5120
.LBB52_44:                              ;   in Loop: Header=BB52_2 Depth=1
	s_or_b32 exec_lo, exec_lo, s16
	v_cmp_ne_u32_e32 vcc_lo, v0, v13
	v_lshlrev_b32_e32 v0, 2, v13
	s_and_saveexec_b32 s16, vcc_lo
	s_cbranch_execz .LBB52_46
; %bb.45:                               ;   in Loop: Header=BB52_2 Depth=1
	ds_store_b32 v20, v39 offset:4096
	ds_store_b32 v0, v39 offset:5120
.LBB52_46:                              ;   in Loop: Header=BB52_2 Depth=1
	s_or_b32 exec_lo, exec_lo, s16
	s_waitcnt lgkmcnt(0)
	s_barrier
	buffer_gl0_inv
	s_and_saveexec_b32 s16, s11
	s_cbranch_execz .LBB52_49
; %bb.47:                               ;   in Loop: Header=BB52_2 Depth=1
	ds_load_b32 v19, v55
	s_waitcnt lgkmcnt(0)
	v_cmp_ne_u32_e32 vcc_lo, v19, v13
	s_and_b32 exec_lo, exec_lo, vcc_lo
	s_cbranch_execz .LBB52_49
; %bb.48:                               ;   in Loop: Header=BB52_2 Depth=1
	ds_store_b32 v0, v35 offset:4096
	ds_load_b32 v19, v55
	s_waitcnt lgkmcnt(0)
	v_lshlrev_b32_e32 v19, 2, v19
	ds_store_b32 v19, v35 offset:5120
.LBB52_49:                              ;   in Loop: Header=BB52_2 Depth=1
	s_or_b32 exec_lo, exec_lo, s16
	s_waitcnt lgkmcnt(0)
	s_barrier
	buffer_gl0_inv
	s_and_saveexec_b32 s16, s10
	s_cbranch_execz .LBB52_51
; %bb.50:                               ;   in Loop: Header=BB52_2 Depth=1
	ds_store_b32 v0, v18 offset:4096
.LBB52_51:                              ;   in Loop: Header=BB52_2 Depth=1
	s_or_b32 exec_lo, exec_lo, s16
	s_waitcnt lgkmcnt(0)
	s_barrier
	buffer_gl0_inv
	s_and_saveexec_b32 s16, s0
	s_cbranch_execz .LBB52_1
; %bb.52:                               ;   in Loop: Header=BB52_2 Depth=1
	ds_load_2addr_stride64_b32 v[19:20], v57 offset0:16 offset1:20
	ds_load_b64 v[21:22], v50
	s_waitcnt lgkmcnt(1)
	v_sub_nc_u32_e32 v0, v20, v19
	s_waitcnt lgkmcnt(0)
	s_delay_alu instid0(VALU_DEP_1)
	v_add_co_u32 v19, vcc_lo, v21, v0
	v_add_co_ci_u32_e32 v20, vcc_lo, 0, v22, vcc_lo
	ds_store_b64 v50, v[19:20]
	s_branch .LBB52_1
.LBB52_53:
	s_and_saveexec_b32 s1, s0
	s_cbranch_execz .LBB52_55
; %bb.54:
	ds_load_b64 v[0:1], v50
	v_lshl_or_b32 v2, s15, 8, v17
	v_mov_b32_e32 v3, 0
	s_delay_alu instid0(VALU_DEP_1) | instskip(NEXT) | instid1(VALU_DEP_1)
	v_lshlrev_b64 v[2:3], 3, v[2:3]
	v_add_co_u32 v2, vcc_lo, s18, v2
	s_delay_alu instid0(VALU_DEP_2)
	v_add_co_ci_u32_e32 v3, vcc_lo, s19, v3, vcc_lo
	s_waitcnt lgkmcnt(0)
	global_store_b64 v[2:3], v[0:1], off
.LBB52_55:
	s_nop 0
	s_sendmsg sendmsg(MSG_DEALLOC_VGPRS)
	s_endpgm
	.section	.rodata,"a",@progbits
	.p2align	6, 0x0
	.amdhsa_kernel _Z6kernelI9histogramILN6hipcub23BlockHistogramAlgorithmE1EEyLj256ELj8ELj256ELj100EEvPKT0_PS4_
		.amdhsa_group_segment_fixed_size 18432
		.amdhsa_private_segment_fixed_size 0
		.amdhsa_kernarg_size 272
		.amdhsa_user_sgpr_count 15
		.amdhsa_user_sgpr_dispatch_ptr 0
		.amdhsa_user_sgpr_queue_ptr 0
		.amdhsa_user_sgpr_kernarg_segment_ptr 1
		.amdhsa_user_sgpr_dispatch_id 0
		.amdhsa_user_sgpr_private_segment_size 0
		.amdhsa_wavefront_size32 1
		.amdhsa_uses_dynamic_stack 0
		.amdhsa_enable_private_segment 0
		.amdhsa_system_sgpr_workgroup_id_x 1
		.amdhsa_system_sgpr_workgroup_id_y 0
		.amdhsa_system_sgpr_workgroup_id_z 0
		.amdhsa_system_sgpr_workgroup_info 0
		.amdhsa_system_vgpr_workitem_id 2
		.amdhsa_next_free_vgpr 74
		.amdhsa_next_free_sgpr 27
		.amdhsa_reserve_vcc 1
		.amdhsa_float_round_mode_32 0
		.amdhsa_float_round_mode_16_64 0
		.amdhsa_float_denorm_mode_32 3
		.amdhsa_float_denorm_mode_16_64 3
		.amdhsa_dx10_clamp 1
		.amdhsa_ieee_mode 1
		.amdhsa_fp16_overflow 0
		.amdhsa_workgroup_processor_mode 1
		.amdhsa_memory_ordered 1
		.amdhsa_forward_progress 0
		.amdhsa_shared_vgpr_count 0
		.amdhsa_exception_fp_ieee_invalid_op 0
		.amdhsa_exception_fp_denorm_src 0
		.amdhsa_exception_fp_ieee_div_zero 0
		.amdhsa_exception_fp_ieee_overflow 0
		.amdhsa_exception_fp_ieee_underflow 0
		.amdhsa_exception_fp_ieee_inexact 0
		.amdhsa_exception_int_div_zero 0
	.end_amdhsa_kernel
	.section	.text._Z6kernelI9histogramILN6hipcub23BlockHistogramAlgorithmE1EEyLj256ELj8ELj256ELj100EEvPKT0_PS4_,"axG",@progbits,_Z6kernelI9histogramILN6hipcub23BlockHistogramAlgorithmE1EEyLj256ELj8ELj256ELj100EEvPKT0_PS4_,comdat
.Lfunc_end52:
	.size	_Z6kernelI9histogramILN6hipcub23BlockHistogramAlgorithmE1EEyLj256ELj8ELj256ELj100EEvPKT0_PS4_, .Lfunc_end52-_Z6kernelI9histogramILN6hipcub23BlockHistogramAlgorithmE1EEyLj256ELj8ELj256ELj100EEvPKT0_PS4_
                                        ; -- End function
	.section	.AMDGPU.csdata,"",@progbits
; Kernel info:
; codeLenInByte = 5048
; NumSgprs: 29
; NumVgprs: 74
; ScratchSize: 0
; MemoryBound: 0
; FloatMode: 240
; IeeeMode: 1
; LDSByteSize: 18432 bytes/workgroup (compile time only)
; SGPRBlocks: 3
; VGPRBlocks: 9
; NumSGPRsForWavesPerEU: 29
; NumVGPRsForWavesPerEU: 74
; Occupancy: 14
; WaveLimiterHint : 0
; COMPUTE_PGM_RSRC2:SCRATCH_EN: 0
; COMPUTE_PGM_RSRC2:USER_SGPR: 15
; COMPUTE_PGM_RSRC2:TRAP_HANDLER: 0
; COMPUTE_PGM_RSRC2:TGID_X_EN: 1
; COMPUTE_PGM_RSRC2:TGID_Y_EN: 0
; COMPUTE_PGM_RSRC2:TGID_Z_EN: 0
; COMPUTE_PGM_RSRC2:TIDIG_COMP_CNT: 2
	.section	.text._Z6kernelI9histogramILN6hipcub23BlockHistogramAlgorithmE1EEyLj256ELj16ELj256ELj100EEvPKT0_PS4_,"axG",@progbits,_Z6kernelI9histogramILN6hipcub23BlockHistogramAlgorithmE1EEyLj256ELj16ELj256ELj100EEvPKT0_PS4_,comdat
	.protected	_Z6kernelI9histogramILN6hipcub23BlockHistogramAlgorithmE1EEyLj256ELj16ELj256ELj100EEvPKT0_PS4_ ; -- Begin function _Z6kernelI9histogramILN6hipcub23BlockHistogramAlgorithmE1EEyLj256ELj16ELj256ELj100EEvPKT0_PS4_
	.globl	_Z6kernelI9histogramILN6hipcub23BlockHistogramAlgorithmE1EEyLj256ELj16ELj256ELj100EEvPKT0_PS4_
	.p2align	8
	.type	_Z6kernelI9histogramILN6hipcub23BlockHistogramAlgorithmE1EEyLj256ELj16ELj256ELj100EEvPKT0_PS4_,@function
_Z6kernelI9histogramILN6hipcub23BlockHistogramAlgorithmE1EEyLj256ELj16ELj256ELj100EEvPKT0_PS4_: ; @_Z6kernelI9histogramILN6hipcub23BlockHistogramAlgorithmE1EEyLj256ELj16ELj256ELj100EEvPKT0_PS4_
; %bb.0:
	v_dual_mov_b32 v34, 0 :: v_dual_and_b32 v33, 0x3ff, v0
	s_clause 0x1
	s_load_b128 s[16:19], s[0:1], 0x0
	s_load_b32 s1, s[0:1], 0x1c
	v_bfe_u32 v35, v0, 10, 10
	v_dual_mov_b32 v2, v34 :: v_dual_lshlrev_b32 v67, 4, v33
	v_bfe_u32 v0, v0, 20, 10
	v_mbcnt_lo_u32_b32 v37, -1, 0
	v_and_b32_e32 v38, 0xe0, v33
	s_delay_alu instid0(VALU_DEP_4)
	v_lshl_or_b32 v1, s15, 12, v67
	v_lshlrev_b32_e32 v68, 5, v33
	v_cmp_gt_u32_e64 s7, 8, v33
	v_cmp_lt_u32_e64 s8, 31, v33
	v_or_b32_e32 v39, v37, v38
	v_lshlrev_b64 v[1:2], 3, v[1:2]
	v_mad_i32_i24 v75, 0xffffffe4, v33, v68
	v_or_b32_e32 v38, 31, v38
	v_dual_mov_b32 v96, 0x1000 :: v_dual_add_nc_u32 v71, 32, v68
	v_cmp_eq_u32_e64 s9, 0, v37
	s_delay_alu instid0(VALU_DEP_4)
	v_mad_u32_u24 v77, 0x7c, v33, v75
	s_waitcnt lgkmcnt(0)
	v_add_co_u32 v29, vcc_lo, s16, v1
	v_add_co_ci_u32_e32 v30, vcc_lo, s17, v2, vcc_lo
	s_lshr_b32 s0, s1, 16
	s_and_b32 s1, s1, 0xffff
	s_clause 0x7
	global_load_b128 v[1:4], v[29:30], off offset:48
	global_load_b128 v[9:12], v[29:30], off offset:32
	;; [unrolled: 1-line block ×3, first 2 shown]
	global_load_b128 v[25:28], v[29:30], off
	global_load_b128 v[5:8], v[29:30], off offset:112
	global_load_b128 v[13:16], v[29:30], off offset:96
	;; [unrolled: 1-line block ×4, first 2 shown]
	v_mad_u32_u24 v0, v0, s0, v35
	v_mad_i32_i24 v92, 0xffffff88, v33, v77
	v_cmp_gt_u32_e64 s0, 0x100, v33
	v_cmp_eq_u32_e64 s6, v38, v33
	v_cmp_eq_u32_e64 s10, 0, v33
	v_mad_u64_u32 v[35:36], null, v0, s1, v[33:34]
	v_and_or_b32 v0, 0xe00, v67, v37
	v_and_b32_e32 v36, 15, v37
	v_cmp_ne_u32_e64 s11, 0, v33
	v_or_b32_e32 v78, 1, v67
	v_or_b32_e32 v79, 2, v67
	v_lshlrev_b32_e32 v70, 3, v0
	v_add_nc_u32_e32 v0, -1, v37
	v_lshrrev_b32_e32 v72, 5, v35
	v_and_b32_e32 v35, 16, v37
	v_cmp_eq_u32_e64 s1, 0, v36
	v_cmp_lt_u32_e64 s2, 1, v36
	v_cmp_gt_i32_e32 vcc_lo, 0, v0
	v_lshlrev_b32_e32 v69, 7, v39
	v_cmp_eq_u32_e64 s5, 0, v35
	v_and_b32_e32 v35, 7, v37
	v_cmp_lt_u32_e64 s3, 3, v36
	v_cndmask_b32_e32 v0, v0, v37, vcc_lo
	v_cmp_lt_u32_e64 s4, 7, v36
	v_or_b32_e32 v80, 3, v67
	v_cmp_eq_u32_e64 s12, 0, v35
	v_cmp_lt_u32_e64 s13, 1, v35
	v_lshlrev_b32_e32 v73, 2, v0
	v_lshrrev_b32_e32 v0, 3, v33
	v_cmp_lt_u32_e64 s14, 3, v35
	v_or_b32_e32 v81, 4, v67
	v_or_b32_e32 v82, 5, v67
	;; [unrolled: 1-line block ×3, first 2 shown]
	v_and_b32_e32 v74, 28, v0
	v_lshlrev_b32_e32 v0, 2, v33
	v_or_b32_e32 v85, 7, v67
	v_or_b32_e32 v86, 8, v67
	;; [unrolled: 1-line block ×3, first 2 shown]
	v_add_nc_u32_e32 v76, -4, v74
	v_sub_nc_u32_e32 v0, 0, v0
	v_or_b32_e32 v88, 10, v67
	v_or_b32_e32 v89, 11, v67
	;; [unrolled: 1-line block ×6, first 2 shown]
	v_lshl_or_b32 v83, v33, 3, 0x8000
	v_add_nc_u32_e32 v95, -8, v92
	v_add_nc_u32_e32 v97, 0x800, v70
	v_add_nc_u32_e32 v98, v92, v0
	s_mov_b32 s20, 0
	s_delay_alu instid0(SALU_CYCLE_1)
	s_mov_b32 s21, s20
	s_mov_b32 s22, s20
	;; [unrolled: 1-line block ×4, first 2 shown]
	s_branch .LBB53_2
.LBB53_1:                               ;   in Loop: Header=BB53_2 Depth=1
	s_or_b32 exec_lo, exec_lo, s16
	s_add_i32 s17, s17, 1
	s_delay_alu instid0(SALU_CYCLE_1)
	s_cmpk_eq_i32 s17, 0x64
	s_cbranch_scc1 .LBB53_85
.LBB53_2:                               ; =>This Loop Header: Depth=1
                                        ;     Child Loop BB53_6 Depth 2
	s_and_saveexec_b32 s16, s0
	s_cbranch_execz .LBB53_4
; %bb.3:                                ;   in Loop: Header=BB53_2 Depth=1
	v_mov_b32_e32 v35, v34
	ds_store_b64 v83, v[34:35]
.LBB53_4:                               ;   in Loop: Header=BB53_2 Depth=1
	s_or_b32 exec_lo, exec_lo, s16
	s_waitcnt vmcnt(0) lgkmcnt(0)
	s_barrier
	buffer_gl0_inv
	ds_store_2addr_b64 v69, v[25:26], v[27:28] offset1:1
	ds_store_2addr_b64 v69, v[17:18], v[19:20] offset0:2 offset1:3
	ds_store_2addr_b64 v69, v[9:10], v[11:12] offset0:4 offset1:5
	;; [unrolled: 1-line block ×7, first 2 shown]
	; wave barrier
	ds_load_2addr_b64 v[16:19], v70 offset1:32
	ds_load_2addr_b64 v[20:23], v70 offset0:64 offset1:96
	ds_load_2addr_b64 v[24:27], v70 offset0:128 offset1:160
	ds_load_2addr_b64 v[28:31], v70 offset0:192 offset1:224
	ds_load_2addr_b64 v[0:3], v97 offset1:32
	ds_load_2addr_b64 v[4:7], v97 offset0:64 offset1:96
	ds_load_2addr_b64 v[8:11], v97 offset0:128 offset1:160
	;; [unrolled: 1-line block ×3, first 2 shown]
	s_mov_b64 s[24:25], 0
	s_waitcnt lgkmcnt(0)
	s_barrier
	buffer_gl0_inv
	; wave barrier
	s_barrier
	s_branch .LBB53_6
.LBB53_5:                               ;   in Loop: Header=BB53_6 Depth=2
	v_lshlrev_b32_e32 v0, 3, v122
	v_lshlrev_b32_e32 v1, 3, v121
	s_barrier
	buffer_gl0_inv
	ds_store_b64 v0, v[49:50]
	v_lshlrev_b32_e32 v0, 3, v120
	v_lshlrev_b32_e32 v2, 3, v119
	;; [unrolled: 1-line block ×4, first 2 shown]
	ds_store_b64 v1, v[41:42]
	ds_store_b64 v0, v[39:40]
	;; [unrolled: 1-line block ×5, first 2 shown]
	v_lshlrev_b32_e32 v0, 3, v114
	v_lshlrev_b32_e32 v1, 3, v111
	;; [unrolled: 1-line block ×5, first 2 shown]
	ds_store_b64 v0, v[37:38]
	ds_store_b64 v1, v[35:36]
	;; [unrolled: 1-line block ×5, first 2 shown]
	v_lshlrev_b32_e32 v0, 3, v102
	v_lshlrev_b32_e32 v1, 3, v101
	;; [unrolled: 1-line block ×5, first 2 shown]
	ds_store_b64 v0, v[51:52]
	ds_store_b64 v1, v[57:58]
	;; [unrolled: 1-line block ×5, first 2 shown]
	s_waitcnt lgkmcnt(0)
	s_barrier
	buffer_gl0_inv
	ds_load_2addr_b64 v[16:19], v70 offset1:32
	ds_load_2addr_b64 v[20:23], v70 offset0:64 offset1:96
	ds_load_2addr_b64 v[24:27], v70 offset0:128 offset1:160
	;; [unrolled: 1-line block ×3, first 2 shown]
	ds_load_2addr_b64 v[0:3], v97 offset1:32
	ds_load_2addr_b64 v[4:7], v97 offset0:64 offset1:96
	ds_load_2addr_b64 v[8:11], v97 offset0:128 offset1:160
	;; [unrolled: 1-line block ×3, first 2 shown]
	s_add_u32 s24, s24, 8
	s_addc_u32 s25, s25, 0
	s_waitcnt lgkmcnt(0)
	s_barrier
	s_cbranch_execz .LBB53_46
.LBB53_6:                               ;   Parent Loop BB53_2 Depth=1
                                        ; =>  This Inner Loop Header: Depth=2
	v_dual_mov_b32 v50, v17 :: v_dual_mov_b32 v49, v16
	v_dual_mov_b32 v42, v19 :: v_dual_mov_b32 v41, v18
	;; [unrolled: 1-line block ×3, first 2 shown]
	s_delay_alu instid0(VALU_DEP_3) | instskip(SKIP_2) | instid1(VALU_DEP_3)
	v_lshrrev_b64 v[16:17], s24, v[49:50]
	v_dual_mov_b32 v46, v25 :: v_dual_mov_b32 v45, v24
	v_dual_mov_b32 v48, v23 :: v_dual_mov_b32 v47, v22
	v_dual_mov_b32 v62, v1 :: v_dual_and_b32 v17, 1, v16
	v_dual_mov_b32 v61, v0 :: v_dual_lshlrev_b32 v18, 30, v16
	v_dual_mov_b32 v66, v3 :: v_dual_lshlrev_b32 v19, 29, v16
	s_delay_alu instid0(VALU_DEP_3) | instskip(NEXT) | instid1(VALU_DEP_1)
	v_add_co_u32 v17, s16, v17, -1
	v_cndmask_b32_e64 v21, 0, 1, s16
	s_delay_alu instid0(VALU_DEP_4) | instskip(SKIP_2) | instid1(VALU_DEP_4)
	v_not_b32_e32 v25, v18
	v_dual_mov_b32 v65, v2 :: v_dual_lshlrev_b32 v20, 28, v16
	v_cmp_gt_i32_e64 s16, 0, v18
	v_cmp_ne_u32_e32 vcc_lo, 0, v21
	v_not_b32_e32 v18, v19
	v_ashrrev_i32_e32 v25, 31, v25
	v_lshlrev_b32_e32 v22, 27, v16
	v_dual_mov_b32 v64, v5 :: v_dual_lshlrev_b32 v23, 26, v16
	v_xor_b32_e32 v17, vcc_lo, v17
	v_cmp_gt_i32_e32 vcc_lo, 0, v19
	v_not_b32_e32 v19, v20
	v_ashrrev_i32_e32 v18, 31, v18
	v_xor_b32_e32 v25, s16, v25
	v_dual_mov_b32 v58, v9 :: v_dual_and_b32 v17, exec_lo, v17
	v_cmp_gt_i32_e64 s16, 0, v20
	v_ashrrev_i32_e32 v19, 31, v19
	v_xor_b32_e32 v18, vcc_lo, v18
	s_delay_alu instid0(VALU_DEP_4)
	v_dual_mov_b32 v56, v11 :: v_dual_and_b32 v17, v17, v25
	v_mov_b32_e32 v63, v4
	v_not_b32_e32 v20, v22
	v_lshlrev_b32_e32 v24, 25, v16
	v_cmp_gt_i32_e32 vcc_lo, 0, v22
	v_not_b32_e32 v22, v23
	v_xor_b32_e32 v19, s16, v19
	v_ashrrev_i32_e32 v20, 31, v20
	v_and_b32_e32 v17, v17, v18
	v_dual_mov_b32 v52, v7 :: v_dual_lshlrev_b32 v21, 24, v16
	v_cmp_gt_i32_e64 s16, 0, v23
	v_ashrrev_i32_e32 v22, 31, v22
	v_xor_b32_e32 v20, vcc_lo, v20
	v_and_b32_e32 v17, v17, v19
	v_mov_b32_e32 v51, v6
	v_not_b32_e32 v18, v24
	v_cmp_gt_i32_e32 vcc_lo, 0, v24
	v_not_b32_e32 v19, v21
	v_xor_b32_e32 v22, s16, v22
	v_dual_mov_b32 v60, v15 :: v_dual_and_b32 v17, v17, v20
	v_ashrrev_i32_e32 v18, 31, v18
	v_cmp_gt_i32_e64 s16, 0, v21
	v_ashrrev_i32_e32 v0, 31, v19
	s_delay_alu instid0(VALU_DEP_4)
	v_and_b32_e32 v17, v17, v22
	v_and_b32_e32 v5, 0xff, v16
	v_xor_b32_e32 v1, vcc_lo, v18
	v_dual_mov_b32 v57, v8 :: v_dual_mov_b32 v54, v13
	v_xor_b32_e32 v0, s16, v0
	buffer_gl0_inv
	v_and_b32_e32 v3, v17, v1
	v_mov_b32_e32 v55, v10
	v_dual_mov_b32 v1, s20 :: v_dual_mov_b32 v2, s21
	v_dual_mov_b32 v44, v27 :: v_dual_mov_b32 v43, v26
	s_delay_alu instid0(VALU_DEP_4)
	v_dual_mov_b32 v3, s22 :: v_dual_and_b32 v0, v3, v0
	v_mov_b32_e32 v4, s23
	ds_store_2addr_b64 v68, v[1:2], v[3:4] offset0:4 offset1:5
	ds_store_2addr_b64 v71, v[1:2], v[3:4] offset0:2 offset1:3
	v_mbcnt_lo_u32_b32 v8, v0, 0
	v_lshl_add_u32 v1, v5, 3, v72
	v_cmp_ne_u32_e64 s16, 0, v0
	v_dual_mov_b32 v38, v29 :: v_dual_mov_b32 v37, v28
	s_delay_alu instid0(VALU_DEP_4)
	v_cmp_eq_u32_e32 vcc_lo, 0, v8
	v_dual_mov_b32 v36, v31 :: v_dual_mov_b32 v35, v30
	v_mov_b32_e32 v53, v12
	v_mov_b32_e32 v59, v14
	v_lshl_add_u32 v9, v1, 2, 32
	s_and_b32 s26, s16, vcc_lo
	s_waitcnt lgkmcnt(0)
	s_barrier
	buffer_gl0_inv
	; wave barrier
	s_and_saveexec_b32 s16, s26
	s_cbranch_execz .LBB53_8
; %bb.7:                                ;   in Loop: Header=BB53_6 Depth=2
	v_bcnt_u32_b32 v0, v0, 0
	ds_store_b32 v9, v0
.LBB53_8:                               ;   in Loop: Header=BB53_6 Depth=2
	s_or_b32 exec_lo, exec_lo, s16
	v_lshrrev_b64 v[0:1], s24, v[41:42]
	; wave barrier
	s_delay_alu instid0(VALU_DEP_1)
	v_and_b32_e32 v2, 1, v0
	v_lshlrev_b32_e32 v3, 30, v0
	v_lshlrev_b32_e32 v4, 29, v0
	;; [unrolled: 1-line block ×4, first 2 shown]
	v_add_co_u32 v2, s16, v2, -1
	s_delay_alu instid0(VALU_DEP_1)
	v_cndmask_b32_e64 v6, 0, 1, s16
	v_not_b32_e32 v12, v3
	v_cmp_gt_i32_e64 s16, 0, v3
	v_not_b32_e32 v3, v4
	v_lshlrev_b32_e32 v10, 26, v0
	v_cmp_ne_u32_e32 vcc_lo, 0, v6
	v_ashrrev_i32_e32 v6, 31, v12
	v_lshlrev_b32_e32 v11, 25, v0
	v_ashrrev_i32_e32 v3, 31, v3
	v_and_b32_e32 v1, 0xff, v0
	v_xor_b32_e32 v2, vcc_lo, v2
	v_cmp_gt_i32_e32 vcc_lo, 0, v4
	v_not_b32_e32 v4, v5
	v_xor_b32_e32 v6, s16, v6
	v_cmp_gt_i32_e64 s16, 0, v5
	v_and_b32_e32 v2, exec_lo, v2
	v_not_b32_e32 v5, v7
	v_ashrrev_i32_e32 v4, 31, v4
	v_xor_b32_e32 v3, vcc_lo, v3
	v_cmp_gt_i32_e32 vcc_lo, 0, v7
	v_and_b32_e32 v2, v2, v6
	v_not_b32_e32 v6, v10
	v_ashrrev_i32_e32 v5, 31, v5
	v_xor_b32_e32 v4, s16, v4
	v_lshlrev_b32_e32 v0, 24, v0
	v_and_b32_e32 v2, v2, v3
	v_cmp_gt_i32_e64 s16, 0, v10
	v_not_b32_e32 v3, v11
	v_ashrrev_i32_e32 v6, 31, v6
	v_xor_b32_e32 v5, vcc_lo, v5
	v_and_b32_e32 v2, v2, v4
	v_cmp_gt_i32_e32 vcc_lo, 0, v11
	v_not_b32_e32 v4, v0
	v_ashrrev_i32_e32 v3, 31, v3
	v_xor_b32_e32 v6, s16, v6
	v_and_b32_e32 v2, v2, v5
	v_lshlrev_b32_e32 v1, 3, v1
	v_cmp_gt_i32_e64 s16, 0, v0
	v_ashrrev_i32_e32 v0, 31, v4
	v_xor_b32_e32 v3, vcc_lo, v3
	v_and_b32_e32 v2, v2, v6
	v_add_lshl_u32 v1, v1, v72, 2
	s_delay_alu instid0(VALU_DEP_4) | instskip(NEXT) | instid1(VALU_DEP_3)
	v_xor_b32_e32 v0, s16, v0
	v_and_b32_e32 v2, v2, v3
	ds_load_b32 v10, v1 offset:32
	v_add_nc_u32_e32 v12, 32, v1
	; wave barrier
	v_and_b32_e32 v0, v2, v0
	s_delay_alu instid0(VALU_DEP_1) | instskip(SKIP_1) | instid1(VALU_DEP_2)
	v_mbcnt_lo_u32_b32 v11, v0, 0
	v_cmp_ne_u32_e64 s16, 0, v0
	v_cmp_eq_u32_e32 vcc_lo, 0, v11
	s_delay_alu instid0(VALU_DEP_2) | instskip(NEXT) | instid1(SALU_CYCLE_1)
	s_and_b32 s26, s16, vcc_lo
	s_and_saveexec_b32 s16, s26
	s_cbranch_execz .LBB53_10
; %bb.9:                                ;   in Loop: Header=BB53_6 Depth=2
	s_waitcnt lgkmcnt(0)
	v_bcnt_u32_b32 v0, v0, v10
	ds_store_b32 v12, v0
.LBB53_10:                              ;   in Loop: Header=BB53_6 Depth=2
	s_or_b32 exec_lo, exec_lo, s16
	v_lshrrev_b64 v[0:1], s24, v[39:40]
	; wave barrier
	s_delay_alu instid0(VALU_DEP_1)
	v_and_b32_e32 v2, 1, v0
	v_lshlrev_b32_e32 v3, 30, v0
	v_lshlrev_b32_e32 v4, 29, v0
	;; [unrolled: 1-line block ×4, first 2 shown]
	v_add_co_u32 v2, s16, v2, -1
	s_delay_alu instid0(VALU_DEP_1)
	v_cndmask_b32_e64 v6, 0, 1, s16
	v_not_b32_e32 v15, v3
	v_cmp_gt_i32_e64 s16, 0, v3
	v_not_b32_e32 v3, v4
	v_lshlrev_b32_e32 v13, 26, v0
	v_cmp_ne_u32_e32 vcc_lo, 0, v6
	v_ashrrev_i32_e32 v6, 31, v15
	v_lshlrev_b32_e32 v14, 25, v0
	v_ashrrev_i32_e32 v3, 31, v3
	v_and_b32_e32 v1, 0xff, v0
	v_xor_b32_e32 v2, vcc_lo, v2
	v_cmp_gt_i32_e32 vcc_lo, 0, v4
	v_not_b32_e32 v4, v5
	v_xor_b32_e32 v6, s16, v6
	v_cmp_gt_i32_e64 s16, 0, v5
	v_and_b32_e32 v2, exec_lo, v2
	v_not_b32_e32 v5, v7
	v_ashrrev_i32_e32 v4, 31, v4
	v_xor_b32_e32 v3, vcc_lo, v3
	v_cmp_gt_i32_e32 vcc_lo, 0, v7
	v_and_b32_e32 v2, v2, v6
	v_not_b32_e32 v6, v13
	v_ashrrev_i32_e32 v5, 31, v5
	v_xor_b32_e32 v4, s16, v4
	v_lshlrev_b32_e32 v0, 24, v0
	v_and_b32_e32 v2, v2, v3
	v_cmp_gt_i32_e64 s16, 0, v13
	v_not_b32_e32 v3, v14
	v_ashrrev_i32_e32 v6, 31, v6
	v_xor_b32_e32 v5, vcc_lo, v5
	v_and_b32_e32 v2, v2, v4
	v_cmp_gt_i32_e32 vcc_lo, 0, v14
	v_not_b32_e32 v4, v0
	v_ashrrev_i32_e32 v3, 31, v3
	v_xor_b32_e32 v6, s16, v6
	v_and_b32_e32 v2, v2, v5
	v_lshlrev_b32_e32 v1, 3, v1
	v_cmp_gt_i32_e64 s16, 0, v0
	v_ashrrev_i32_e32 v0, 31, v4
	v_xor_b32_e32 v3, vcc_lo, v3
	v_and_b32_e32 v2, v2, v6
	v_add_lshl_u32 v1, v1, v72, 2
	s_delay_alu instid0(VALU_DEP_4) | instskip(NEXT) | instid1(VALU_DEP_3)
	v_xor_b32_e32 v0, s16, v0
	v_and_b32_e32 v2, v2, v3
	ds_load_b32 v13, v1 offset:32
	v_add_nc_u32_e32 v15, 32, v1
	; wave barrier
	v_and_b32_e32 v0, v2, v0
	s_delay_alu instid0(VALU_DEP_1) | instskip(SKIP_1) | instid1(VALU_DEP_2)
	v_mbcnt_lo_u32_b32 v14, v0, 0
	v_cmp_ne_u32_e64 s16, 0, v0
	v_cmp_eq_u32_e32 vcc_lo, 0, v14
	s_delay_alu instid0(VALU_DEP_2) | instskip(NEXT) | instid1(SALU_CYCLE_1)
	s_and_b32 s26, s16, vcc_lo
	s_and_saveexec_b32 s16, s26
	s_cbranch_execz .LBB53_12
; %bb.11:                               ;   in Loop: Header=BB53_6 Depth=2
	s_waitcnt lgkmcnt(0)
	v_bcnt_u32_b32 v0, v0, v13
	ds_store_b32 v15, v0
.LBB53_12:                              ;   in Loop: Header=BB53_6 Depth=2
	s_or_b32 exec_lo, exec_lo, s16
	v_lshrrev_b64 v[0:1], s24, v[47:48]
	; wave barrier
	s_delay_alu instid0(VALU_DEP_1)
	v_and_b32_e32 v2, 1, v0
	v_lshlrev_b32_e32 v3, 30, v0
	v_lshlrev_b32_e32 v4, 29, v0
	v_lshlrev_b32_e32 v5, 28, v0
	v_lshlrev_b32_e32 v7, 27, v0
	v_add_co_u32 v2, s16, v2, -1
	s_delay_alu instid0(VALU_DEP_1)
	v_cndmask_b32_e64 v6, 0, 1, s16
	v_not_b32_e32 v18, v3
	v_cmp_gt_i32_e64 s16, 0, v3
	v_not_b32_e32 v3, v4
	v_lshlrev_b32_e32 v16, 26, v0
	v_cmp_ne_u32_e32 vcc_lo, 0, v6
	v_ashrrev_i32_e32 v6, 31, v18
	v_lshlrev_b32_e32 v17, 25, v0
	v_ashrrev_i32_e32 v3, 31, v3
	v_and_b32_e32 v1, 0xff, v0
	v_xor_b32_e32 v2, vcc_lo, v2
	v_cmp_gt_i32_e32 vcc_lo, 0, v4
	v_not_b32_e32 v4, v5
	v_xor_b32_e32 v6, s16, v6
	v_cmp_gt_i32_e64 s16, 0, v5
	v_and_b32_e32 v2, exec_lo, v2
	v_not_b32_e32 v5, v7
	v_ashrrev_i32_e32 v4, 31, v4
	v_xor_b32_e32 v3, vcc_lo, v3
	v_cmp_gt_i32_e32 vcc_lo, 0, v7
	v_and_b32_e32 v2, v2, v6
	v_not_b32_e32 v6, v16
	v_ashrrev_i32_e32 v5, 31, v5
	v_xor_b32_e32 v4, s16, v4
	v_lshlrev_b32_e32 v0, 24, v0
	v_and_b32_e32 v2, v2, v3
	v_cmp_gt_i32_e64 s16, 0, v16
	v_not_b32_e32 v3, v17
	v_ashrrev_i32_e32 v6, 31, v6
	v_xor_b32_e32 v5, vcc_lo, v5
	v_and_b32_e32 v2, v2, v4
	v_cmp_gt_i32_e32 vcc_lo, 0, v17
	v_not_b32_e32 v4, v0
	v_ashrrev_i32_e32 v3, 31, v3
	v_xor_b32_e32 v6, s16, v6
	v_and_b32_e32 v2, v2, v5
	v_lshlrev_b32_e32 v1, 3, v1
	v_cmp_gt_i32_e64 s16, 0, v0
	v_ashrrev_i32_e32 v0, 31, v4
	v_xor_b32_e32 v3, vcc_lo, v3
	v_and_b32_e32 v2, v2, v6
	v_add_lshl_u32 v1, v1, v72, 2
	s_delay_alu instid0(VALU_DEP_4) | instskip(NEXT) | instid1(VALU_DEP_3)
	v_xor_b32_e32 v0, s16, v0
	v_and_b32_e32 v2, v2, v3
	ds_load_b32 v16, v1 offset:32
	v_add_nc_u32_e32 v18, 32, v1
	; wave barrier
	v_and_b32_e32 v0, v2, v0
	s_delay_alu instid0(VALU_DEP_1) | instskip(SKIP_1) | instid1(VALU_DEP_2)
	v_mbcnt_lo_u32_b32 v17, v0, 0
	v_cmp_ne_u32_e64 s16, 0, v0
	v_cmp_eq_u32_e32 vcc_lo, 0, v17
	s_delay_alu instid0(VALU_DEP_2) | instskip(NEXT) | instid1(SALU_CYCLE_1)
	s_and_b32 s26, s16, vcc_lo
	s_and_saveexec_b32 s16, s26
	s_cbranch_execz .LBB53_14
; %bb.13:                               ;   in Loop: Header=BB53_6 Depth=2
	s_waitcnt lgkmcnt(0)
	v_bcnt_u32_b32 v0, v0, v16
	ds_store_b32 v18, v0
.LBB53_14:                              ;   in Loop: Header=BB53_6 Depth=2
	s_or_b32 exec_lo, exec_lo, s16
	v_lshrrev_b64 v[0:1], s24, v[45:46]
	; wave barrier
	s_delay_alu instid0(VALU_DEP_1)
	v_and_b32_e32 v2, 1, v0
	v_lshlrev_b32_e32 v3, 30, v0
	v_lshlrev_b32_e32 v4, 29, v0
	v_lshlrev_b32_e32 v5, 28, v0
	v_lshlrev_b32_e32 v7, 27, v0
	v_add_co_u32 v2, s16, v2, -1
	s_delay_alu instid0(VALU_DEP_1)
	v_cndmask_b32_e64 v6, 0, 1, s16
	v_not_b32_e32 v21, v3
	v_cmp_gt_i32_e64 s16, 0, v3
	v_not_b32_e32 v3, v4
	v_lshlrev_b32_e32 v19, 26, v0
	v_cmp_ne_u32_e32 vcc_lo, 0, v6
	v_ashrrev_i32_e32 v6, 31, v21
	v_lshlrev_b32_e32 v20, 25, v0
	v_ashrrev_i32_e32 v3, 31, v3
	v_and_b32_e32 v1, 0xff, v0
	v_xor_b32_e32 v2, vcc_lo, v2
	v_cmp_gt_i32_e32 vcc_lo, 0, v4
	v_not_b32_e32 v4, v5
	v_xor_b32_e32 v6, s16, v6
	v_cmp_gt_i32_e64 s16, 0, v5
	v_and_b32_e32 v2, exec_lo, v2
	v_not_b32_e32 v5, v7
	v_ashrrev_i32_e32 v4, 31, v4
	v_xor_b32_e32 v3, vcc_lo, v3
	v_cmp_gt_i32_e32 vcc_lo, 0, v7
	v_and_b32_e32 v2, v2, v6
	v_not_b32_e32 v6, v19
	v_ashrrev_i32_e32 v5, 31, v5
	v_xor_b32_e32 v4, s16, v4
	v_lshlrev_b32_e32 v0, 24, v0
	v_and_b32_e32 v2, v2, v3
	v_cmp_gt_i32_e64 s16, 0, v19
	v_not_b32_e32 v3, v20
	v_ashrrev_i32_e32 v6, 31, v6
	v_xor_b32_e32 v5, vcc_lo, v5
	v_and_b32_e32 v2, v2, v4
	v_cmp_gt_i32_e32 vcc_lo, 0, v20
	v_not_b32_e32 v4, v0
	v_ashrrev_i32_e32 v3, 31, v3
	v_xor_b32_e32 v6, s16, v6
	v_and_b32_e32 v2, v2, v5
	v_lshlrev_b32_e32 v1, 3, v1
	v_cmp_gt_i32_e64 s16, 0, v0
	v_ashrrev_i32_e32 v0, 31, v4
	v_xor_b32_e32 v3, vcc_lo, v3
	v_and_b32_e32 v2, v2, v6
	v_add_lshl_u32 v1, v1, v72, 2
	s_delay_alu instid0(VALU_DEP_4) | instskip(NEXT) | instid1(VALU_DEP_3)
	v_xor_b32_e32 v0, s16, v0
	v_and_b32_e32 v2, v2, v3
	ds_load_b32 v19, v1 offset:32
	v_add_nc_u32_e32 v21, 32, v1
	; wave barrier
	v_and_b32_e32 v0, v2, v0
	s_delay_alu instid0(VALU_DEP_1) | instskip(SKIP_1) | instid1(VALU_DEP_2)
	v_mbcnt_lo_u32_b32 v20, v0, 0
	v_cmp_ne_u32_e64 s16, 0, v0
	v_cmp_eq_u32_e32 vcc_lo, 0, v20
	s_delay_alu instid0(VALU_DEP_2) | instskip(NEXT) | instid1(SALU_CYCLE_1)
	s_and_b32 s26, s16, vcc_lo
	s_and_saveexec_b32 s16, s26
	s_cbranch_execz .LBB53_16
; %bb.15:                               ;   in Loop: Header=BB53_6 Depth=2
	s_waitcnt lgkmcnt(0)
	v_bcnt_u32_b32 v0, v0, v19
	ds_store_b32 v21, v0
.LBB53_16:                              ;   in Loop: Header=BB53_6 Depth=2
	s_or_b32 exec_lo, exec_lo, s16
	v_lshrrev_b64 v[0:1], s24, v[43:44]
	; wave barrier
	s_delay_alu instid0(VALU_DEP_1)
	v_and_b32_e32 v2, 1, v0
	v_lshlrev_b32_e32 v3, 30, v0
	v_lshlrev_b32_e32 v4, 29, v0
	;; [unrolled: 1-line block ×4, first 2 shown]
	v_add_co_u32 v2, s16, v2, -1
	s_delay_alu instid0(VALU_DEP_1)
	v_cndmask_b32_e64 v6, 0, 1, s16
	v_not_b32_e32 v24, v3
	v_cmp_gt_i32_e64 s16, 0, v3
	v_not_b32_e32 v3, v4
	v_lshlrev_b32_e32 v22, 26, v0
	v_cmp_ne_u32_e32 vcc_lo, 0, v6
	v_ashrrev_i32_e32 v6, 31, v24
	v_lshlrev_b32_e32 v23, 25, v0
	v_ashrrev_i32_e32 v3, 31, v3
	v_and_b32_e32 v1, 0xff, v0
	v_xor_b32_e32 v2, vcc_lo, v2
	v_cmp_gt_i32_e32 vcc_lo, 0, v4
	v_not_b32_e32 v4, v5
	v_xor_b32_e32 v6, s16, v6
	v_cmp_gt_i32_e64 s16, 0, v5
	v_and_b32_e32 v2, exec_lo, v2
	v_not_b32_e32 v5, v7
	v_ashrrev_i32_e32 v4, 31, v4
	v_xor_b32_e32 v3, vcc_lo, v3
	v_cmp_gt_i32_e32 vcc_lo, 0, v7
	v_and_b32_e32 v2, v2, v6
	v_not_b32_e32 v6, v22
	v_ashrrev_i32_e32 v5, 31, v5
	v_xor_b32_e32 v4, s16, v4
	v_lshlrev_b32_e32 v0, 24, v0
	v_and_b32_e32 v2, v2, v3
	v_cmp_gt_i32_e64 s16, 0, v22
	v_not_b32_e32 v3, v23
	v_ashrrev_i32_e32 v6, 31, v6
	v_xor_b32_e32 v5, vcc_lo, v5
	v_and_b32_e32 v2, v2, v4
	v_cmp_gt_i32_e32 vcc_lo, 0, v23
	v_not_b32_e32 v4, v0
	v_ashrrev_i32_e32 v3, 31, v3
	v_xor_b32_e32 v6, s16, v6
	v_and_b32_e32 v2, v2, v5
	v_lshlrev_b32_e32 v1, 3, v1
	v_cmp_gt_i32_e64 s16, 0, v0
	v_ashrrev_i32_e32 v0, 31, v4
	v_xor_b32_e32 v3, vcc_lo, v3
	v_and_b32_e32 v2, v2, v6
	v_add_lshl_u32 v1, v1, v72, 2
	s_delay_alu instid0(VALU_DEP_4) | instskip(NEXT) | instid1(VALU_DEP_3)
	v_xor_b32_e32 v0, s16, v0
	v_and_b32_e32 v2, v2, v3
	ds_load_b32 v22, v1 offset:32
	v_add_nc_u32_e32 v24, 32, v1
	; wave barrier
	v_and_b32_e32 v0, v2, v0
	s_delay_alu instid0(VALU_DEP_1) | instskip(SKIP_1) | instid1(VALU_DEP_2)
	v_mbcnt_lo_u32_b32 v23, v0, 0
	v_cmp_ne_u32_e64 s16, 0, v0
	v_cmp_eq_u32_e32 vcc_lo, 0, v23
	s_delay_alu instid0(VALU_DEP_2) | instskip(NEXT) | instid1(SALU_CYCLE_1)
	s_and_b32 s26, s16, vcc_lo
	s_and_saveexec_b32 s16, s26
	s_cbranch_execz .LBB53_18
; %bb.17:                               ;   in Loop: Header=BB53_6 Depth=2
	s_waitcnt lgkmcnt(0)
	v_bcnt_u32_b32 v0, v0, v22
	ds_store_b32 v24, v0
.LBB53_18:                              ;   in Loop: Header=BB53_6 Depth=2
	s_or_b32 exec_lo, exec_lo, s16
	v_lshrrev_b64 v[0:1], s24, v[37:38]
	; wave barrier
	s_delay_alu instid0(VALU_DEP_1)
	v_and_b32_e32 v2, 1, v0
	v_lshlrev_b32_e32 v3, 30, v0
	v_lshlrev_b32_e32 v4, 29, v0
	;; [unrolled: 1-line block ×4, first 2 shown]
	v_add_co_u32 v2, s16, v2, -1
	s_delay_alu instid0(VALU_DEP_1)
	v_cndmask_b32_e64 v6, 0, 1, s16
	v_not_b32_e32 v27, v3
	v_cmp_gt_i32_e64 s16, 0, v3
	v_not_b32_e32 v3, v4
	v_lshlrev_b32_e32 v25, 26, v0
	v_cmp_ne_u32_e32 vcc_lo, 0, v6
	v_ashrrev_i32_e32 v6, 31, v27
	v_lshlrev_b32_e32 v26, 25, v0
	v_ashrrev_i32_e32 v3, 31, v3
	v_and_b32_e32 v1, 0xff, v0
	v_xor_b32_e32 v2, vcc_lo, v2
	v_cmp_gt_i32_e32 vcc_lo, 0, v4
	v_not_b32_e32 v4, v5
	v_xor_b32_e32 v6, s16, v6
	v_cmp_gt_i32_e64 s16, 0, v5
	v_and_b32_e32 v2, exec_lo, v2
	v_not_b32_e32 v5, v7
	v_ashrrev_i32_e32 v4, 31, v4
	v_xor_b32_e32 v3, vcc_lo, v3
	v_cmp_gt_i32_e32 vcc_lo, 0, v7
	v_and_b32_e32 v2, v2, v6
	v_not_b32_e32 v6, v25
	v_ashrrev_i32_e32 v5, 31, v5
	v_xor_b32_e32 v4, s16, v4
	v_lshlrev_b32_e32 v0, 24, v0
	v_and_b32_e32 v2, v2, v3
	v_cmp_gt_i32_e64 s16, 0, v25
	v_not_b32_e32 v3, v26
	v_ashrrev_i32_e32 v6, 31, v6
	v_xor_b32_e32 v5, vcc_lo, v5
	v_and_b32_e32 v2, v2, v4
	v_cmp_gt_i32_e32 vcc_lo, 0, v26
	v_not_b32_e32 v4, v0
	v_ashrrev_i32_e32 v3, 31, v3
	v_xor_b32_e32 v6, s16, v6
	v_and_b32_e32 v2, v2, v5
	v_lshlrev_b32_e32 v1, 3, v1
	v_cmp_gt_i32_e64 s16, 0, v0
	v_ashrrev_i32_e32 v0, 31, v4
	v_xor_b32_e32 v3, vcc_lo, v3
	v_and_b32_e32 v2, v2, v6
	v_add_lshl_u32 v1, v1, v72, 2
	s_delay_alu instid0(VALU_DEP_4) | instskip(NEXT) | instid1(VALU_DEP_3)
	v_xor_b32_e32 v0, s16, v0
	v_and_b32_e32 v2, v2, v3
	ds_load_b32 v25, v1 offset:32
	v_add_nc_u32_e32 v27, 32, v1
	; wave barrier
	v_and_b32_e32 v0, v2, v0
	s_delay_alu instid0(VALU_DEP_1) | instskip(SKIP_1) | instid1(VALU_DEP_2)
	v_mbcnt_lo_u32_b32 v26, v0, 0
	v_cmp_ne_u32_e64 s16, 0, v0
	v_cmp_eq_u32_e32 vcc_lo, 0, v26
	s_delay_alu instid0(VALU_DEP_2) | instskip(NEXT) | instid1(SALU_CYCLE_1)
	s_and_b32 s26, s16, vcc_lo
	s_and_saveexec_b32 s16, s26
	s_cbranch_execz .LBB53_20
; %bb.19:                               ;   in Loop: Header=BB53_6 Depth=2
	s_waitcnt lgkmcnt(0)
	v_bcnt_u32_b32 v0, v0, v25
	ds_store_b32 v27, v0
.LBB53_20:                              ;   in Loop: Header=BB53_6 Depth=2
	s_or_b32 exec_lo, exec_lo, s16
	v_lshrrev_b64 v[0:1], s24, v[35:36]
	; wave barrier
	s_delay_alu instid0(VALU_DEP_1)
	v_and_b32_e32 v2, 1, v0
	v_lshlrev_b32_e32 v3, 30, v0
	v_lshlrev_b32_e32 v4, 29, v0
	;; [unrolled: 1-line block ×4, first 2 shown]
	v_add_co_u32 v2, s16, v2, -1
	s_delay_alu instid0(VALU_DEP_1)
	v_cndmask_b32_e64 v6, 0, 1, s16
	v_not_b32_e32 v30, v3
	v_cmp_gt_i32_e64 s16, 0, v3
	v_not_b32_e32 v3, v4
	v_lshlrev_b32_e32 v28, 26, v0
	v_cmp_ne_u32_e32 vcc_lo, 0, v6
	v_ashrrev_i32_e32 v6, 31, v30
	v_lshlrev_b32_e32 v29, 25, v0
	v_ashrrev_i32_e32 v3, 31, v3
	v_and_b32_e32 v1, 0xff, v0
	v_xor_b32_e32 v2, vcc_lo, v2
	v_cmp_gt_i32_e32 vcc_lo, 0, v4
	v_not_b32_e32 v4, v5
	v_xor_b32_e32 v6, s16, v6
	v_cmp_gt_i32_e64 s16, 0, v5
	v_and_b32_e32 v2, exec_lo, v2
	v_not_b32_e32 v5, v7
	v_ashrrev_i32_e32 v4, 31, v4
	v_xor_b32_e32 v3, vcc_lo, v3
	v_cmp_gt_i32_e32 vcc_lo, 0, v7
	v_and_b32_e32 v2, v2, v6
	v_not_b32_e32 v6, v28
	v_ashrrev_i32_e32 v5, 31, v5
	v_xor_b32_e32 v4, s16, v4
	v_lshlrev_b32_e32 v0, 24, v0
	v_and_b32_e32 v2, v2, v3
	v_cmp_gt_i32_e64 s16, 0, v28
	v_not_b32_e32 v3, v29
	v_ashrrev_i32_e32 v6, 31, v6
	v_xor_b32_e32 v5, vcc_lo, v5
	v_and_b32_e32 v2, v2, v4
	v_cmp_gt_i32_e32 vcc_lo, 0, v29
	v_not_b32_e32 v4, v0
	v_ashrrev_i32_e32 v3, 31, v3
	v_xor_b32_e32 v6, s16, v6
	v_and_b32_e32 v2, v2, v5
	v_lshlrev_b32_e32 v1, 3, v1
	v_cmp_gt_i32_e64 s16, 0, v0
	v_ashrrev_i32_e32 v0, 31, v4
	v_xor_b32_e32 v3, vcc_lo, v3
	v_and_b32_e32 v2, v2, v6
	v_add_lshl_u32 v1, v1, v72, 2
	s_delay_alu instid0(VALU_DEP_4) | instskip(NEXT) | instid1(VALU_DEP_3)
	v_xor_b32_e32 v0, s16, v0
	v_and_b32_e32 v2, v2, v3
	ds_load_b32 v28, v1 offset:32
	v_add_nc_u32_e32 v30, 32, v1
	; wave barrier
	v_and_b32_e32 v0, v2, v0
	s_delay_alu instid0(VALU_DEP_1) | instskip(SKIP_1) | instid1(VALU_DEP_2)
	v_mbcnt_lo_u32_b32 v29, v0, 0
	v_cmp_ne_u32_e64 s16, 0, v0
	v_cmp_eq_u32_e32 vcc_lo, 0, v29
	s_delay_alu instid0(VALU_DEP_2) | instskip(NEXT) | instid1(SALU_CYCLE_1)
	s_and_b32 s26, s16, vcc_lo
	s_and_saveexec_b32 s16, s26
	s_cbranch_execz .LBB53_22
; %bb.21:                               ;   in Loop: Header=BB53_6 Depth=2
	s_waitcnt lgkmcnt(0)
	v_bcnt_u32_b32 v0, v0, v28
	ds_store_b32 v30, v0
.LBB53_22:                              ;   in Loop: Header=BB53_6 Depth=2
	s_or_b32 exec_lo, exec_lo, s16
	v_lshrrev_b64 v[0:1], s24, v[61:62]
	; wave barrier
	s_delay_alu instid0(VALU_DEP_1)
	v_and_b32_e32 v2, 1, v0
	v_lshlrev_b32_e32 v3, 30, v0
	v_lshlrev_b32_e32 v4, 29, v0
	;; [unrolled: 1-line block ×4, first 2 shown]
	v_add_co_u32 v2, s16, v2, -1
	s_delay_alu instid0(VALU_DEP_1)
	v_cndmask_b32_e64 v6, 0, 1, s16
	v_not_b32_e32 v99, v3
	v_cmp_gt_i32_e64 s16, 0, v3
	v_not_b32_e32 v3, v4
	v_lshlrev_b32_e32 v31, 26, v0
	v_cmp_ne_u32_e32 vcc_lo, 0, v6
	v_ashrrev_i32_e32 v6, 31, v99
	v_lshlrev_b32_e32 v32, 25, v0
	v_ashrrev_i32_e32 v3, 31, v3
	v_and_b32_e32 v1, 0xff, v0
	v_xor_b32_e32 v2, vcc_lo, v2
	v_cmp_gt_i32_e32 vcc_lo, 0, v4
	v_not_b32_e32 v4, v5
	v_xor_b32_e32 v6, s16, v6
	v_cmp_gt_i32_e64 s16, 0, v5
	v_and_b32_e32 v2, exec_lo, v2
	v_not_b32_e32 v5, v7
	v_ashrrev_i32_e32 v4, 31, v4
	v_xor_b32_e32 v3, vcc_lo, v3
	v_cmp_gt_i32_e32 vcc_lo, 0, v7
	v_and_b32_e32 v2, v2, v6
	v_not_b32_e32 v6, v31
	v_ashrrev_i32_e32 v5, 31, v5
	v_xor_b32_e32 v4, s16, v4
	v_lshlrev_b32_e32 v0, 24, v0
	v_and_b32_e32 v2, v2, v3
	v_cmp_gt_i32_e64 s16, 0, v31
	v_not_b32_e32 v3, v32
	v_ashrrev_i32_e32 v6, 31, v6
	v_xor_b32_e32 v5, vcc_lo, v5
	v_and_b32_e32 v2, v2, v4
	v_cmp_gt_i32_e32 vcc_lo, 0, v32
	v_not_b32_e32 v4, v0
	v_ashrrev_i32_e32 v3, 31, v3
	v_xor_b32_e32 v6, s16, v6
	v_and_b32_e32 v2, v2, v5
	v_lshlrev_b32_e32 v1, 3, v1
	v_cmp_gt_i32_e64 s16, 0, v0
	v_ashrrev_i32_e32 v0, 31, v4
	v_xor_b32_e32 v3, vcc_lo, v3
	v_and_b32_e32 v2, v2, v6
	v_add_lshl_u32 v1, v1, v72, 2
	s_delay_alu instid0(VALU_DEP_4) | instskip(NEXT) | instid1(VALU_DEP_3)
	v_xor_b32_e32 v0, s16, v0
	v_and_b32_e32 v2, v2, v3
	ds_load_b32 v31, v1 offset:32
	v_add_nc_u32_e32 v99, 32, v1
	; wave barrier
	v_and_b32_e32 v0, v2, v0
	s_delay_alu instid0(VALU_DEP_1) | instskip(SKIP_1) | instid1(VALU_DEP_2)
	v_mbcnt_lo_u32_b32 v32, v0, 0
	v_cmp_ne_u32_e64 s16, 0, v0
	v_cmp_eq_u32_e32 vcc_lo, 0, v32
	s_delay_alu instid0(VALU_DEP_2) | instskip(NEXT) | instid1(SALU_CYCLE_1)
	s_and_b32 s26, s16, vcc_lo
	s_and_saveexec_b32 s16, s26
	s_cbranch_execz .LBB53_24
; %bb.23:                               ;   in Loop: Header=BB53_6 Depth=2
	s_waitcnt lgkmcnt(0)
	v_bcnt_u32_b32 v0, v0, v31
	ds_store_b32 v99, v0
.LBB53_24:                              ;   in Loop: Header=BB53_6 Depth=2
	s_or_b32 exec_lo, exec_lo, s16
	v_lshrrev_b64 v[0:1], s24, v[65:66]
	; wave barrier
	s_delay_alu instid0(VALU_DEP_1)
	v_and_b32_e32 v2, 1, v0
	v_lshlrev_b32_e32 v3, 30, v0
	v_lshlrev_b32_e32 v4, 29, v0
	;; [unrolled: 1-line block ×4, first 2 shown]
	v_add_co_u32 v2, s16, v2, -1
	s_delay_alu instid0(VALU_DEP_1)
	v_cndmask_b32_e64 v6, 0, 1, s16
	v_not_b32_e32 v102, v3
	v_cmp_gt_i32_e64 s16, 0, v3
	v_not_b32_e32 v3, v4
	v_lshlrev_b32_e32 v100, 26, v0
	v_cmp_ne_u32_e32 vcc_lo, 0, v6
	v_ashrrev_i32_e32 v6, 31, v102
	v_lshlrev_b32_e32 v101, 25, v0
	v_ashrrev_i32_e32 v3, 31, v3
	v_and_b32_e32 v1, 0xff, v0
	v_xor_b32_e32 v2, vcc_lo, v2
	v_cmp_gt_i32_e32 vcc_lo, 0, v4
	v_not_b32_e32 v4, v5
	v_xor_b32_e32 v6, s16, v6
	v_cmp_gt_i32_e64 s16, 0, v5
	v_and_b32_e32 v2, exec_lo, v2
	v_not_b32_e32 v5, v7
	v_ashrrev_i32_e32 v4, 31, v4
	v_xor_b32_e32 v3, vcc_lo, v3
	v_cmp_gt_i32_e32 vcc_lo, 0, v7
	v_and_b32_e32 v2, v2, v6
	v_not_b32_e32 v6, v100
	v_ashrrev_i32_e32 v5, 31, v5
	v_xor_b32_e32 v4, s16, v4
	v_lshlrev_b32_e32 v0, 24, v0
	v_and_b32_e32 v2, v2, v3
	v_cmp_gt_i32_e64 s16, 0, v100
	v_not_b32_e32 v3, v101
	v_ashrrev_i32_e32 v6, 31, v6
	v_xor_b32_e32 v5, vcc_lo, v5
	v_and_b32_e32 v2, v2, v4
	v_cmp_gt_i32_e32 vcc_lo, 0, v101
	v_not_b32_e32 v4, v0
	v_ashrrev_i32_e32 v3, 31, v3
	v_xor_b32_e32 v6, s16, v6
	v_and_b32_e32 v2, v2, v5
	v_lshlrev_b32_e32 v1, 3, v1
	v_cmp_gt_i32_e64 s16, 0, v0
	v_ashrrev_i32_e32 v0, 31, v4
	v_xor_b32_e32 v3, vcc_lo, v3
	v_and_b32_e32 v2, v2, v6
	v_add_lshl_u32 v1, v1, v72, 2
	s_delay_alu instid0(VALU_DEP_4) | instskip(NEXT) | instid1(VALU_DEP_3)
	v_xor_b32_e32 v0, s16, v0
	v_and_b32_e32 v2, v2, v3
	ds_load_b32 v100, v1 offset:32
	v_add_nc_u32_e32 v102, 32, v1
	; wave barrier
	v_and_b32_e32 v0, v2, v0
	s_delay_alu instid0(VALU_DEP_1) | instskip(SKIP_1) | instid1(VALU_DEP_2)
	v_mbcnt_lo_u32_b32 v101, v0, 0
	v_cmp_ne_u32_e64 s16, 0, v0
	v_cmp_eq_u32_e32 vcc_lo, 0, v101
	s_delay_alu instid0(VALU_DEP_2) | instskip(NEXT) | instid1(SALU_CYCLE_1)
	s_and_b32 s26, s16, vcc_lo
	s_and_saveexec_b32 s16, s26
	s_cbranch_execz .LBB53_26
; %bb.25:                               ;   in Loop: Header=BB53_6 Depth=2
	s_waitcnt lgkmcnt(0)
	v_bcnt_u32_b32 v0, v0, v100
	ds_store_b32 v102, v0
.LBB53_26:                              ;   in Loop: Header=BB53_6 Depth=2
	s_or_b32 exec_lo, exec_lo, s16
	v_lshrrev_b64 v[0:1], s24, v[63:64]
	; wave barrier
	s_delay_alu instid0(VALU_DEP_1)
	v_and_b32_e32 v2, 1, v0
	v_lshlrev_b32_e32 v3, 30, v0
	v_lshlrev_b32_e32 v4, 29, v0
	;; [unrolled: 1-line block ×4, first 2 shown]
	v_add_co_u32 v2, s16, v2, -1
	s_delay_alu instid0(VALU_DEP_1)
	v_cndmask_b32_e64 v6, 0, 1, s16
	v_not_b32_e32 v105, v3
	v_cmp_gt_i32_e64 s16, 0, v3
	v_not_b32_e32 v3, v4
	v_lshlrev_b32_e32 v103, 26, v0
	v_cmp_ne_u32_e32 vcc_lo, 0, v6
	v_ashrrev_i32_e32 v6, 31, v105
	v_lshlrev_b32_e32 v104, 25, v0
	v_ashrrev_i32_e32 v3, 31, v3
	v_and_b32_e32 v1, 0xff, v0
	v_xor_b32_e32 v2, vcc_lo, v2
	v_cmp_gt_i32_e32 vcc_lo, 0, v4
	v_not_b32_e32 v4, v5
	v_xor_b32_e32 v6, s16, v6
	v_cmp_gt_i32_e64 s16, 0, v5
	v_and_b32_e32 v2, exec_lo, v2
	v_not_b32_e32 v5, v7
	v_ashrrev_i32_e32 v4, 31, v4
	v_xor_b32_e32 v3, vcc_lo, v3
	v_cmp_gt_i32_e32 vcc_lo, 0, v7
	v_and_b32_e32 v2, v2, v6
	v_not_b32_e32 v6, v103
	v_ashrrev_i32_e32 v5, 31, v5
	v_xor_b32_e32 v4, s16, v4
	v_lshlrev_b32_e32 v0, 24, v0
	v_and_b32_e32 v2, v2, v3
	v_cmp_gt_i32_e64 s16, 0, v103
	v_not_b32_e32 v3, v104
	v_ashrrev_i32_e32 v6, 31, v6
	v_xor_b32_e32 v5, vcc_lo, v5
	v_and_b32_e32 v2, v2, v4
	v_cmp_gt_i32_e32 vcc_lo, 0, v104
	v_not_b32_e32 v4, v0
	v_ashrrev_i32_e32 v3, 31, v3
	v_xor_b32_e32 v6, s16, v6
	v_and_b32_e32 v2, v2, v5
	v_lshlrev_b32_e32 v1, 3, v1
	v_cmp_gt_i32_e64 s16, 0, v0
	v_ashrrev_i32_e32 v0, 31, v4
	v_xor_b32_e32 v3, vcc_lo, v3
	v_and_b32_e32 v2, v2, v6
	v_add_lshl_u32 v1, v1, v72, 2
	s_delay_alu instid0(VALU_DEP_4) | instskip(NEXT) | instid1(VALU_DEP_3)
	v_xor_b32_e32 v0, s16, v0
	v_and_b32_e32 v2, v2, v3
	ds_load_b32 v103, v1 offset:32
	v_add_nc_u32_e32 v105, 32, v1
	; wave barrier
	v_and_b32_e32 v0, v2, v0
	s_delay_alu instid0(VALU_DEP_1) | instskip(SKIP_1) | instid1(VALU_DEP_2)
	v_mbcnt_lo_u32_b32 v104, v0, 0
	v_cmp_ne_u32_e64 s16, 0, v0
	v_cmp_eq_u32_e32 vcc_lo, 0, v104
	s_delay_alu instid0(VALU_DEP_2) | instskip(NEXT) | instid1(SALU_CYCLE_1)
	s_and_b32 s26, s16, vcc_lo
	s_and_saveexec_b32 s16, s26
	s_cbranch_execz .LBB53_28
; %bb.27:                               ;   in Loop: Header=BB53_6 Depth=2
	s_waitcnt lgkmcnt(0)
	v_bcnt_u32_b32 v0, v0, v103
	ds_store_b32 v105, v0
.LBB53_28:                              ;   in Loop: Header=BB53_6 Depth=2
	s_or_b32 exec_lo, exec_lo, s16
	v_lshrrev_b64 v[0:1], s24, v[51:52]
	; wave barrier
	s_delay_alu instid0(VALU_DEP_1)
	v_and_b32_e32 v2, 1, v0
	v_lshlrev_b32_e32 v3, 30, v0
	v_lshlrev_b32_e32 v4, 29, v0
	;; [unrolled: 1-line block ×4, first 2 shown]
	v_add_co_u32 v2, s16, v2, -1
	s_delay_alu instid0(VALU_DEP_1)
	v_cndmask_b32_e64 v6, 0, 1, s16
	v_not_b32_e32 v108, v3
	v_cmp_gt_i32_e64 s16, 0, v3
	v_not_b32_e32 v3, v4
	v_lshlrev_b32_e32 v106, 26, v0
	v_cmp_ne_u32_e32 vcc_lo, 0, v6
	v_ashrrev_i32_e32 v6, 31, v108
	v_lshlrev_b32_e32 v107, 25, v0
	v_ashrrev_i32_e32 v3, 31, v3
	v_and_b32_e32 v1, 0xff, v0
	v_xor_b32_e32 v2, vcc_lo, v2
	v_cmp_gt_i32_e32 vcc_lo, 0, v4
	v_not_b32_e32 v4, v5
	v_xor_b32_e32 v6, s16, v6
	v_cmp_gt_i32_e64 s16, 0, v5
	v_and_b32_e32 v2, exec_lo, v2
	v_not_b32_e32 v5, v7
	v_ashrrev_i32_e32 v4, 31, v4
	v_xor_b32_e32 v3, vcc_lo, v3
	v_cmp_gt_i32_e32 vcc_lo, 0, v7
	v_and_b32_e32 v2, v2, v6
	v_not_b32_e32 v6, v106
	v_ashrrev_i32_e32 v5, 31, v5
	v_xor_b32_e32 v4, s16, v4
	v_lshlrev_b32_e32 v0, 24, v0
	v_and_b32_e32 v2, v2, v3
	v_cmp_gt_i32_e64 s16, 0, v106
	v_not_b32_e32 v3, v107
	v_ashrrev_i32_e32 v6, 31, v6
	v_xor_b32_e32 v5, vcc_lo, v5
	v_and_b32_e32 v2, v2, v4
	v_cmp_gt_i32_e32 vcc_lo, 0, v107
	v_not_b32_e32 v4, v0
	v_ashrrev_i32_e32 v3, 31, v3
	v_xor_b32_e32 v6, s16, v6
	v_and_b32_e32 v2, v2, v5
	v_lshlrev_b32_e32 v1, 3, v1
	v_cmp_gt_i32_e64 s16, 0, v0
	v_ashrrev_i32_e32 v0, 31, v4
	v_xor_b32_e32 v3, vcc_lo, v3
	v_and_b32_e32 v2, v2, v6
	v_add_lshl_u32 v1, v1, v72, 2
	s_delay_alu instid0(VALU_DEP_4) | instskip(NEXT) | instid1(VALU_DEP_3)
	v_xor_b32_e32 v0, s16, v0
	v_and_b32_e32 v2, v2, v3
	ds_load_b32 v106, v1 offset:32
	v_add_nc_u32_e32 v108, 32, v1
	; wave barrier
	v_and_b32_e32 v0, v2, v0
	s_delay_alu instid0(VALU_DEP_1) | instskip(SKIP_1) | instid1(VALU_DEP_2)
	v_mbcnt_lo_u32_b32 v107, v0, 0
	v_cmp_ne_u32_e64 s16, 0, v0
	v_cmp_eq_u32_e32 vcc_lo, 0, v107
	s_delay_alu instid0(VALU_DEP_2) | instskip(NEXT) | instid1(SALU_CYCLE_1)
	s_and_b32 s26, s16, vcc_lo
	s_and_saveexec_b32 s16, s26
	s_cbranch_execz .LBB53_30
; %bb.29:                               ;   in Loop: Header=BB53_6 Depth=2
	s_waitcnt lgkmcnt(0)
	v_bcnt_u32_b32 v0, v0, v106
	ds_store_b32 v108, v0
.LBB53_30:                              ;   in Loop: Header=BB53_6 Depth=2
	s_or_b32 exec_lo, exec_lo, s16
	v_lshrrev_b64 v[0:1], s24, v[57:58]
	; wave barrier
	s_delay_alu instid0(VALU_DEP_1)
	v_and_b32_e32 v2, 1, v0
	v_lshlrev_b32_e32 v3, 30, v0
	v_lshlrev_b32_e32 v4, 29, v0
	;; [unrolled: 1-line block ×4, first 2 shown]
	v_add_co_u32 v2, s16, v2, -1
	s_delay_alu instid0(VALU_DEP_1)
	v_cndmask_b32_e64 v6, 0, 1, s16
	v_not_b32_e32 v111, v3
	v_cmp_gt_i32_e64 s16, 0, v3
	v_not_b32_e32 v3, v4
	v_lshlrev_b32_e32 v109, 26, v0
	v_cmp_ne_u32_e32 vcc_lo, 0, v6
	v_ashrrev_i32_e32 v6, 31, v111
	v_lshlrev_b32_e32 v110, 25, v0
	v_ashrrev_i32_e32 v3, 31, v3
	v_and_b32_e32 v1, 0xff, v0
	v_xor_b32_e32 v2, vcc_lo, v2
	v_cmp_gt_i32_e32 vcc_lo, 0, v4
	v_not_b32_e32 v4, v5
	v_xor_b32_e32 v6, s16, v6
	v_cmp_gt_i32_e64 s16, 0, v5
	v_and_b32_e32 v2, exec_lo, v2
	v_not_b32_e32 v5, v7
	v_ashrrev_i32_e32 v4, 31, v4
	v_xor_b32_e32 v3, vcc_lo, v3
	v_cmp_gt_i32_e32 vcc_lo, 0, v7
	v_and_b32_e32 v2, v2, v6
	v_not_b32_e32 v6, v109
	v_ashrrev_i32_e32 v5, 31, v5
	v_xor_b32_e32 v4, s16, v4
	v_lshlrev_b32_e32 v0, 24, v0
	v_and_b32_e32 v2, v2, v3
	v_cmp_gt_i32_e64 s16, 0, v109
	v_not_b32_e32 v3, v110
	v_ashrrev_i32_e32 v6, 31, v6
	v_xor_b32_e32 v5, vcc_lo, v5
	v_and_b32_e32 v2, v2, v4
	v_cmp_gt_i32_e32 vcc_lo, 0, v110
	v_not_b32_e32 v4, v0
	v_ashrrev_i32_e32 v3, 31, v3
	v_xor_b32_e32 v6, s16, v6
	v_and_b32_e32 v2, v2, v5
	v_lshlrev_b32_e32 v1, 3, v1
	v_cmp_gt_i32_e64 s16, 0, v0
	v_ashrrev_i32_e32 v0, 31, v4
	v_xor_b32_e32 v3, vcc_lo, v3
	v_and_b32_e32 v2, v2, v6
	v_add_lshl_u32 v1, v1, v72, 2
	s_delay_alu instid0(VALU_DEP_4) | instskip(NEXT) | instid1(VALU_DEP_3)
	v_xor_b32_e32 v0, s16, v0
	v_and_b32_e32 v2, v2, v3
	ds_load_b32 v109, v1 offset:32
	v_add_nc_u32_e32 v111, 32, v1
	; wave barrier
	v_and_b32_e32 v0, v2, v0
	s_delay_alu instid0(VALU_DEP_1) | instskip(SKIP_1) | instid1(VALU_DEP_2)
	v_mbcnt_lo_u32_b32 v110, v0, 0
	v_cmp_ne_u32_e64 s16, 0, v0
	v_cmp_eq_u32_e32 vcc_lo, 0, v110
	s_delay_alu instid0(VALU_DEP_2) | instskip(NEXT) | instid1(SALU_CYCLE_1)
	s_and_b32 s26, s16, vcc_lo
	s_and_saveexec_b32 s16, s26
	s_cbranch_execz .LBB53_32
; %bb.31:                               ;   in Loop: Header=BB53_6 Depth=2
	s_waitcnt lgkmcnt(0)
	v_bcnt_u32_b32 v0, v0, v109
	ds_store_b32 v111, v0
.LBB53_32:                              ;   in Loop: Header=BB53_6 Depth=2
	s_or_b32 exec_lo, exec_lo, s16
	v_lshrrev_b64 v[0:1], s24, v[55:56]
	; wave barrier
	s_delay_alu instid0(VALU_DEP_1)
	v_and_b32_e32 v2, 1, v0
	v_lshlrev_b32_e32 v3, 30, v0
	v_lshlrev_b32_e32 v4, 29, v0
	;; [unrolled: 1-line block ×4, first 2 shown]
	v_add_co_u32 v2, s16, v2, -1
	s_delay_alu instid0(VALU_DEP_1)
	v_cndmask_b32_e64 v6, 0, 1, s16
	v_not_b32_e32 v114, v3
	v_cmp_gt_i32_e64 s16, 0, v3
	v_not_b32_e32 v3, v4
	v_lshlrev_b32_e32 v112, 26, v0
	v_cmp_ne_u32_e32 vcc_lo, 0, v6
	v_ashrrev_i32_e32 v6, 31, v114
	v_lshlrev_b32_e32 v113, 25, v0
	v_ashrrev_i32_e32 v3, 31, v3
	v_and_b32_e32 v1, 0xff, v0
	v_xor_b32_e32 v2, vcc_lo, v2
	v_cmp_gt_i32_e32 vcc_lo, 0, v4
	v_not_b32_e32 v4, v5
	v_xor_b32_e32 v6, s16, v6
	v_cmp_gt_i32_e64 s16, 0, v5
	v_and_b32_e32 v2, exec_lo, v2
	v_not_b32_e32 v5, v7
	v_ashrrev_i32_e32 v4, 31, v4
	v_xor_b32_e32 v3, vcc_lo, v3
	v_cmp_gt_i32_e32 vcc_lo, 0, v7
	v_and_b32_e32 v2, v2, v6
	v_not_b32_e32 v6, v112
	v_ashrrev_i32_e32 v5, 31, v5
	v_xor_b32_e32 v4, s16, v4
	v_lshlrev_b32_e32 v0, 24, v0
	v_and_b32_e32 v2, v2, v3
	v_cmp_gt_i32_e64 s16, 0, v112
	v_not_b32_e32 v3, v113
	v_ashrrev_i32_e32 v6, 31, v6
	v_xor_b32_e32 v5, vcc_lo, v5
	v_and_b32_e32 v2, v2, v4
	v_cmp_gt_i32_e32 vcc_lo, 0, v113
	v_not_b32_e32 v4, v0
	v_ashrrev_i32_e32 v3, 31, v3
	v_xor_b32_e32 v6, s16, v6
	v_and_b32_e32 v2, v2, v5
	v_lshlrev_b32_e32 v1, 3, v1
	v_cmp_gt_i32_e64 s16, 0, v0
	v_ashrrev_i32_e32 v0, 31, v4
	v_xor_b32_e32 v3, vcc_lo, v3
	v_and_b32_e32 v2, v2, v6
	v_add_lshl_u32 v1, v1, v72, 2
	s_delay_alu instid0(VALU_DEP_4) | instskip(NEXT) | instid1(VALU_DEP_3)
	v_xor_b32_e32 v0, s16, v0
	v_and_b32_e32 v2, v2, v3
	ds_load_b32 v112, v1 offset:32
	v_add_nc_u32_e32 v114, 32, v1
	; wave barrier
	v_and_b32_e32 v0, v2, v0
	s_delay_alu instid0(VALU_DEP_1) | instskip(SKIP_1) | instid1(VALU_DEP_2)
	v_mbcnt_lo_u32_b32 v113, v0, 0
	v_cmp_ne_u32_e64 s16, 0, v0
	v_cmp_eq_u32_e32 vcc_lo, 0, v113
	s_delay_alu instid0(VALU_DEP_2) | instskip(NEXT) | instid1(SALU_CYCLE_1)
	s_and_b32 s26, s16, vcc_lo
	s_and_saveexec_b32 s16, s26
	s_cbranch_execz .LBB53_34
; %bb.33:                               ;   in Loop: Header=BB53_6 Depth=2
	s_waitcnt lgkmcnt(0)
	v_bcnt_u32_b32 v0, v0, v112
	ds_store_b32 v114, v0
.LBB53_34:                              ;   in Loop: Header=BB53_6 Depth=2
	s_or_b32 exec_lo, exec_lo, s16
	v_lshrrev_b64 v[0:1], s24, v[53:54]
	; wave barrier
	s_delay_alu instid0(VALU_DEP_1)
	v_and_b32_e32 v2, 1, v0
	v_lshlrev_b32_e32 v3, 30, v0
	v_lshlrev_b32_e32 v4, 29, v0
	;; [unrolled: 1-line block ×4, first 2 shown]
	v_add_co_u32 v2, s16, v2, -1
	s_delay_alu instid0(VALU_DEP_1)
	v_cndmask_b32_e64 v6, 0, 1, s16
	v_not_b32_e32 v117, v3
	v_cmp_gt_i32_e64 s16, 0, v3
	v_not_b32_e32 v3, v4
	v_lshlrev_b32_e32 v115, 26, v0
	v_cmp_ne_u32_e32 vcc_lo, 0, v6
	v_ashrrev_i32_e32 v6, 31, v117
	v_lshlrev_b32_e32 v116, 25, v0
	v_ashrrev_i32_e32 v3, 31, v3
	v_and_b32_e32 v1, 0xff, v0
	v_xor_b32_e32 v2, vcc_lo, v2
	v_cmp_gt_i32_e32 vcc_lo, 0, v4
	v_not_b32_e32 v4, v5
	v_xor_b32_e32 v6, s16, v6
	v_cmp_gt_i32_e64 s16, 0, v5
	v_and_b32_e32 v2, exec_lo, v2
	v_not_b32_e32 v5, v7
	v_ashrrev_i32_e32 v4, 31, v4
	v_xor_b32_e32 v3, vcc_lo, v3
	v_cmp_gt_i32_e32 vcc_lo, 0, v7
	v_and_b32_e32 v2, v2, v6
	v_not_b32_e32 v6, v115
	v_ashrrev_i32_e32 v5, 31, v5
	v_xor_b32_e32 v4, s16, v4
	v_lshlrev_b32_e32 v0, 24, v0
	v_and_b32_e32 v2, v2, v3
	v_cmp_gt_i32_e64 s16, 0, v115
	v_not_b32_e32 v3, v116
	v_ashrrev_i32_e32 v6, 31, v6
	v_xor_b32_e32 v5, vcc_lo, v5
	v_and_b32_e32 v2, v2, v4
	v_cmp_gt_i32_e32 vcc_lo, 0, v116
	v_not_b32_e32 v4, v0
	v_ashrrev_i32_e32 v3, 31, v3
	v_xor_b32_e32 v6, s16, v6
	v_and_b32_e32 v2, v2, v5
	v_lshlrev_b32_e32 v1, 3, v1
	v_cmp_gt_i32_e64 s16, 0, v0
	v_ashrrev_i32_e32 v0, 31, v4
	v_xor_b32_e32 v3, vcc_lo, v3
	v_and_b32_e32 v2, v2, v6
	v_add_lshl_u32 v1, v1, v72, 2
	s_delay_alu instid0(VALU_DEP_4) | instskip(NEXT) | instid1(VALU_DEP_3)
	v_xor_b32_e32 v0, s16, v0
	v_and_b32_e32 v2, v2, v3
	ds_load_b32 v115, v1 offset:32
	v_add_nc_u32_e32 v117, 32, v1
	; wave barrier
	v_and_b32_e32 v0, v2, v0
	s_delay_alu instid0(VALU_DEP_1) | instskip(SKIP_1) | instid1(VALU_DEP_2)
	v_mbcnt_lo_u32_b32 v116, v0, 0
	v_cmp_ne_u32_e64 s16, 0, v0
	v_cmp_eq_u32_e32 vcc_lo, 0, v116
	s_delay_alu instid0(VALU_DEP_2) | instskip(NEXT) | instid1(SALU_CYCLE_1)
	s_and_b32 s26, s16, vcc_lo
	s_and_saveexec_b32 s16, s26
	s_cbranch_execz .LBB53_36
; %bb.35:                               ;   in Loop: Header=BB53_6 Depth=2
	s_waitcnt lgkmcnt(0)
	v_bcnt_u32_b32 v0, v0, v115
	ds_store_b32 v117, v0
.LBB53_36:                              ;   in Loop: Header=BB53_6 Depth=2
	s_or_b32 exec_lo, exec_lo, s16
	v_lshrrev_b64 v[0:1], s24, v[59:60]
	; wave barrier
	s_delay_alu instid0(VALU_DEP_1)
	v_and_b32_e32 v2, 1, v0
	v_lshlrev_b32_e32 v3, 30, v0
	v_lshlrev_b32_e32 v4, 29, v0
	;; [unrolled: 1-line block ×4, first 2 shown]
	v_add_co_u32 v2, s16, v2, -1
	s_delay_alu instid0(VALU_DEP_1)
	v_cndmask_b32_e64 v6, 0, 1, s16
	v_not_b32_e32 v120, v3
	v_cmp_gt_i32_e64 s16, 0, v3
	v_not_b32_e32 v3, v4
	v_lshlrev_b32_e32 v118, 26, v0
	v_cmp_ne_u32_e32 vcc_lo, 0, v6
	v_ashrrev_i32_e32 v6, 31, v120
	v_lshlrev_b32_e32 v119, 25, v0
	v_ashrrev_i32_e32 v3, 31, v3
	v_and_b32_e32 v1, 0xff, v0
	v_xor_b32_e32 v2, vcc_lo, v2
	v_cmp_gt_i32_e32 vcc_lo, 0, v4
	v_not_b32_e32 v4, v5
	v_xor_b32_e32 v6, s16, v6
	v_cmp_gt_i32_e64 s16, 0, v5
	v_and_b32_e32 v2, exec_lo, v2
	v_not_b32_e32 v5, v7
	v_ashrrev_i32_e32 v4, 31, v4
	v_xor_b32_e32 v3, vcc_lo, v3
	v_cmp_gt_i32_e32 vcc_lo, 0, v7
	v_and_b32_e32 v2, v2, v6
	v_not_b32_e32 v6, v118
	v_ashrrev_i32_e32 v5, 31, v5
	v_xor_b32_e32 v4, s16, v4
	v_lshlrev_b32_e32 v0, 24, v0
	v_and_b32_e32 v2, v2, v3
	v_cmp_gt_i32_e64 s16, 0, v118
	v_not_b32_e32 v3, v119
	v_ashrrev_i32_e32 v6, 31, v6
	v_xor_b32_e32 v5, vcc_lo, v5
	v_and_b32_e32 v2, v2, v4
	v_cmp_gt_i32_e32 vcc_lo, 0, v119
	v_not_b32_e32 v4, v0
	v_ashrrev_i32_e32 v3, 31, v3
	v_xor_b32_e32 v6, s16, v6
	v_and_b32_e32 v2, v2, v5
	v_lshlrev_b32_e32 v1, 3, v1
	v_cmp_gt_i32_e64 s16, 0, v0
	v_ashrrev_i32_e32 v0, 31, v4
	v_xor_b32_e32 v3, vcc_lo, v3
	v_and_b32_e32 v2, v2, v6
	v_add_lshl_u32 v1, v1, v72, 2
	s_delay_alu instid0(VALU_DEP_4) | instskip(NEXT) | instid1(VALU_DEP_3)
	v_xor_b32_e32 v0, s16, v0
	v_and_b32_e32 v2, v2, v3
	ds_load_b32 v123, v1 offset:32
	v_add_nc_u32_e32 v118, 32, v1
	; wave barrier
	v_and_b32_e32 v0, v2, v0
	s_delay_alu instid0(VALU_DEP_1) | instskip(SKIP_1) | instid1(VALU_DEP_2)
	v_mbcnt_lo_u32_b32 v124, v0, 0
	v_cmp_ne_u32_e64 s16, 0, v0
	v_cmp_eq_u32_e32 vcc_lo, 0, v124
	s_delay_alu instid0(VALU_DEP_2) | instskip(NEXT) | instid1(SALU_CYCLE_1)
	s_and_b32 s26, s16, vcc_lo
	s_and_saveexec_b32 s16, s26
	s_cbranch_execz .LBB53_38
; %bb.37:                               ;   in Loop: Header=BB53_6 Depth=2
	s_waitcnt lgkmcnt(0)
	v_bcnt_u32_b32 v0, v0, v123
	ds_store_b32 v118, v0
.LBB53_38:                              ;   in Loop: Header=BB53_6 Depth=2
	s_or_b32 exec_lo, exec_lo, s16
	; wave barrier
	s_waitcnt lgkmcnt(0)
	s_barrier
	buffer_gl0_inv
	ds_load_2addr_b64 v[4:7], v68 offset0:4 offset1:5
	ds_load_2addr_b64 v[0:3], v71 offset0:2 offset1:3
	s_waitcnt lgkmcnt(1)
	v_add_nc_u32_e32 v119, v5, v4
	s_delay_alu instid0(VALU_DEP_1) | instskip(SKIP_1) | instid1(VALU_DEP_1)
	v_add3_u32 v119, v119, v6, v7
	s_waitcnt lgkmcnt(0)
	v_add3_u32 v119, v119, v0, v1
	s_delay_alu instid0(VALU_DEP_1) | instskip(NEXT) | instid1(VALU_DEP_1)
	v_add3_u32 v3, v119, v2, v3
	v_mov_b32_dpp v119, v3 row_shr:1 row_mask:0xf bank_mask:0xf
	s_delay_alu instid0(VALU_DEP_1) | instskip(NEXT) | instid1(VALU_DEP_1)
	v_cndmask_b32_e64 v119, v119, 0, s1
	v_add_nc_u32_e32 v3, v119, v3
	s_delay_alu instid0(VALU_DEP_1) | instskip(NEXT) | instid1(VALU_DEP_1)
	v_mov_b32_dpp v119, v3 row_shr:2 row_mask:0xf bank_mask:0xf
	v_cndmask_b32_e64 v119, 0, v119, s2
	s_delay_alu instid0(VALU_DEP_1) | instskip(NEXT) | instid1(VALU_DEP_1)
	v_add_nc_u32_e32 v3, v3, v119
	v_mov_b32_dpp v119, v3 row_shr:4 row_mask:0xf bank_mask:0xf
	s_delay_alu instid0(VALU_DEP_1) | instskip(NEXT) | instid1(VALU_DEP_1)
	v_cndmask_b32_e64 v119, 0, v119, s3
	v_add_nc_u32_e32 v3, v3, v119
	s_delay_alu instid0(VALU_DEP_1) | instskip(NEXT) | instid1(VALU_DEP_1)
	v_mov_b32_dpp v119, v3 row_shr:8 row_mask:0xf bank_mask:0xf
	v_cndmask_b32_e64 v119, 0, v119, s4
	s_delay_alu instid0(VALU_DEP_1) | instskip(SKIP_3) | instid1(VALU_DEP_1)
	v_add_nc_u32_e32 v3, v3, v119
	ds_swizzle_b32 v119, v3 offset:swizzle(BROADCAST,32,15)
	s_waitcnt lgkmcnt(0)
	v_cndmask_b32_e64 v119, v119, 0, s5
	v_add_nc_u32_e32 v3, v3, v119
	s_and_saveexec_b32 s16, s6
	s_cbranch_execz .LBB53_40
; %bb.39:                               ;   in Loop: Header=BB53_6 Depth=2
	ds_store_b32 v74, v3
.LBB53_40:                              ;   in Loop: Header=BB53_6 Depth=2
	s_or_b32 exec_lo, exec_lo, s16
	s_waitcnt lgkmcnt(0)
	s_barrier
	buffer_gl0_inv
	s_and_saveexec_b32 s16, s7
	s_cbranch_execz .LBB53_42
; %bb.41:                               ;   in Loop: Header=BB53_6 Depth=2
	ds_load_b32 v119, v75
	s_waitcnt lgkmcnt(0)
	v_mov_b32_dpp v120, v119 row_shr:1 row_mask:0xf bank_mask:0xf
	s_delay_alu instid0(VALU_DEP_1) | instskip(NEXT) | instid1(VALU_DEP_1)
	v_cndmask_b32_e64 v120, v120, 0, s12
	v_add_nc_u32_e32 v119, v120, v119
	s_delay_alu instid0(VALU_DEP_1) | instskip(NEXT) | instid1(VALU_DEP_1)
	v_mov_b32_dpp v120, v119 row_shr:2 row_mask:0xf bank_mask:0xf
	v_cndmask_b32_e64 v120, 0, v120, s13
	s_delay_alu instid0(VALU_DEP_1) | instskip(NEXT) | instid1(VALU_DEP_1)
	v_add_nc_u32_e32 v119, v119, v120
	v_mov_b32_dpp v120, v119 row_shr:4 row_mask:0xf bank_mask:0xf
	s_delay_alu instid0(VALU_DEP_1) | instskip(NEXT) | instid1(VALU_DEP_1)
	v_cndmask_b32_e64 v120, 0, v120, s14
	v_add_nc_u32_e32 v119, v119, v120
	ds_store_b32 v75, v119
.LBB53_42:                              ;   in Loop: Header=BB53_6 Depth=2
	s_or_b32 exec_lo, exec_lo, s16
	v_mov_b32_e32 v119, 0
	s_waitcnt lgkmcnt(0)
	s_barrier
	buffer_gl0_inv
	s_and_saveexec_b32 s16, s8
	s_cbranch_execz .LBB53_44
; %bb.43:                               ;   in Loop: Header=BB53_6 Depth=2
	ds_load_b32 v119, v76
.LBB53_44:                              ;   in Loop: Header=BB53_6 Depth=2
	s_or_b32 exec_lo, exec_lo, s16
	s_waitcnt lgkmcnt(0)
	v_add_nc_u32_e32 v3, v119, v3
	s_cmp_gt_u32 s24, 55
	ds_bpermute_b32 v3, v73, v3
	s_waitcnt lgkmcnt(0)
	v_cndmask_b32_e64 v3, v3, v119, s9
	s_delay_alu instid0(VALU_DEP_1) | instskip(NEXT) | instid1(VALU_DEP_1)
	v_cndmask_b32_e64 v3, v3, 0, s10
	v_add_nc_u32_e32 v4, v3, v4
	s_delay_alu instid0(VALU_DEP_1) | instskip(NEXT) | instid1(VALU_DEP_1)
	v_add_nc_u32_e32 v5, v4, v5
	v_add_nc_u32_e32 v6, v5, v6
	s_delay_alu instid0(VALU_DEP_1) | instskip(NEXT) | instid1(VALU_DEP_1)
	v_add_nc_u32_e32 v119, v6, v7
	;; [unrolled: 3-line block ×3, first 2 shown]
	v_add_nc_u32_e32 v1, v0, v2
	ds_store_2addr_b64 v68, v[3:4], v[5:6] offset0:4 offset1:5
	ds_store_2addr_b64 v71, v[119:120], v[0:1] offset0:2 offset1:3
	s_waitcnt lgkmcnt(0)
	s_barrier
	buffer_gl0_inv
	ds_load_b32 v0, v9
	ds_load_b32 v1, v12
	;; [unrolled: 1-line block ×16, first 2 shown]
	s_waitcnt lgkmcnt(15)
	v_add_nc_u32_e32 v122, v0, v8
	s_waitcnt lgkmcnt(14)
	v_add3_u32 v121, v11, v10, v1
	s_waitcnt lgkmcnt(13)
	v_add3_u32 v120, v14, v13, v2
	;; [unrolled: 2-line block ×15, first 2 shown]
	s_cbranch_scc0 .LBB53_5
; %bb.45:                               ;   in Loop: Header=BB53_2 Depth=1
                                        ; implicit-def: $vgpr16_vgpr17
                                        ; implicit-def: $vgpr20_vgpr21
                                        ; implicit-def: $vgpr24_vgpr25
                                        ; implicit-def: $vgpr28_vgpr29
                                        ; implicit-def: $vgpr0_vgpr1
                                        ; implicit-def: $vgpr4_vgpr5
                                        ; implicit-def: $vgpr8_vgpr9
                                        ; implicit-def: $vgpr12_vgpr13
                                        ; implicit-def: $sgpr24_sgpr25
.LBB53_46:                              ;   in Loop: Header=BB53_2 Depth=1
	v_lshlrev_b32_e32 v0, 3, v122
	v_lshlrev_b32_e32 v1, 3, v121
	s_barrier
	buffer_gl0_inv
	ds_store_b64 v0, v[49:50]
	v_lshlrev_b32_e32 v0, 3, v120
	v_lshlrev_b32_e32 v2, 3, v119
	;; [unrolled: 1-line block ×4, first 2 shown]
	ds_store_b64 v1, v[41:42]
	ds_store_b64 v0, v[39:40]
	;; [unrolled: 1-line block ×5, first 2 shown]
	v_lshlrev_b32_e32 v0, 3, v114
	v_lshlrev_b32_e32 v1, 3, v111
	;; [unrolled: 1-line block ×5, first 2 shown]
	ds_store_b64 v0, v[37:38]
	ds_store_b64 v1, v[35:36]
	;; [unrolled: 1-line block ×5, first 2 shown]
	v_lshlrev_b32_e32 v0, 3, v102
	v_lshlrev_b32_e32 v1, 3, v101
	v_lshlrev_b32_e32 v2, 3, v100
	v_lshlrev_b32_e32 v3, 3, v99
	v_lshlrev_b32_e32 v4, 3, v32
	ds_store_b64 v0, v[51:52]
	ds_store_b64 v1, v[57:58]
	;; [unrolled: 1-line block ×5, first 2 shown]
	s_waitcnt lgkmcnt(0)
	s_barrier
	buffer_gl0_inv
	ds_load_2addr_b64 v[25:28], v77 offset1:1
	ds_load_2addr_b64 v[17:20], v77 offset0:2 offset1:3
	ds_load_2addr_b64 v[9:12], v77 offset0:4 offset1:5
	;; [unrolled: 1-line block ×7, first 2 shown]
	s_waitcnt lgkmcnt(0)
	s_barrier
	buffer_gl0_inv
	s_and_saveexec_b32 s16, s0
	s_cbranch_execz .LBB53_48
; %bb.47:                               ;   in Loop: Header=BB53_2 Depth=1
	ds_store_2addr_stride64_b32 v98, v96, v96 offset0:16 offset1:20
.LBB53_48:                              ;   in Loop: Header=BB53_2 Depth=1
	s_or_b32 exec_lo, exec_lo, s16
	v_lshlrev_b32_e32 v35, 2, v5
	s_mov_b32 s16, exec_lo
	s_waitcnt lgkmcnt(0)
	s_barrier
	buffer_gl0_inv
	ds_store_b64 v92, v[7:8]
	v_cmpx_ne_u32_e64 v5, v7
	s_cbranch_execz .LBB53_50
; %bb.49:                               ;   in Loop: Header=BB53_2 Depth=1
	v_lshlrev_b32_e32 v0, 2, v7
	ds_store_b32 v0, v94 offset:4096
	ds_store_b32 v35, v94 offset:5120
.LBB53_50:                              ;   in Loop: Header=BB53_2 Depth=1
	s_or_b32 exec_lo, exec_lo, s16
	v_lshlrev_b32_e32 v36, 2, v15
	v_mov_b32_e32 v0, v5
	s_mov_b32 s16, exec_lo
	v_cmpx_ne_u32_e64 v5, v15
	s_cbranch_execz .LBB53_52
; %bb.51:                               ;   in Loop: Header=BB53_2 Depth=1
	v_mov_b32_e32 v0, v15
	ds_store_b32 v35, v93 offset:4096
	ds_store_b32 v36, v93 offset:5120
.LBB53_52:                              ;   in Loop: Header=BB53_2 Depth=1
	s_or_b32 exec_lo, exec_lo, s16
	v_lshlrev_b32_e32 v35, 2, v13
	s_mov_b32 s16, exec_lo
	v_cmpx_ne_u32_e64 v0, v13
	s_cbranch_execz .LBB53_54
; %bb.53:                               ;   in Loop: Header=BB53_2 Depth=1
	v_mov_b32_e32 v0, v13
	ds_store_b32 v36, v91 offset:4096
	ds_store_b32 v35, v91 offset:5120
.LBB53_54:                              ;   in Loop: Header=BB53_2 Depth=1
	s_or_b32 exec_lo, exec_lo, s16
	v_lshlrev_b32_e32 v36, 2, v23
	;; [unrolled: 10-line block ×12, first 2 shown]
	s_mov_b32 s16, exec_lo
	v_cmpx_ne_u32_e64 v0, v27
	s_cbranch_execz .LBB53_76
; %bb.75:                               ;   in Loop: Header=BB53_2 Depth=1
	v_mov_b32_e32 v0, v27
	ds_store_b32 v35, v79 offset:4096
	ds_store_b32 v36, v79 offset:5120
.LBB53_76:                              ;   in Loop: Header=BB53_2 Depth=1
	s_or_b32 exec_lo, exec_lo, s16
	v_cmp_ne_u32_e32 vcc_lo, v0, v25
	v_lshlrev_b32_e32 v0, 2, v25
	s_and_saveexec_b32 s16, vcc_lo
	s_cbranch_execz .LBB53_78
; %bb.77:                               ;   in Loop: Header=BB53_2 Depth=1
	ds_store_b32 v36, v78 offset:4096
	ds_store_b32 v0, v78 offset:5120
.LBB53_78:                              ;   in Loop: Header=BB53_2 Depth=1
	s_or_b32 exec_lo, exec_lo, s16
	s_waitcnt lgkmcnt(0)
	s_barrier
	buffer_gl0_inv
	s_and_saveexec_b32 s16, s11
	s_cbranch_execz .LBB53_81
; %bb.79:                               ;   in Loop: Header=BB53_2 Depth=1
	ds_load_b32 v35, v95
	s_waitcnt lgkmcnt(0)
	v_cmp_ne_u32_e32 vcc_lo, v35, v25
	s_and_b32 exec_lo, exec_lo, vcc_lo
	s_cbranch_execz .LBB53_81
; %bb.80:                               ;   in Loop: Header=BB53_2 Depth=1
	ds_store_b32 v0, v67 offset:4096
	ds_load_b32 v35, v95
	s_waitcnt lgkmcnt(0)
	v_lshlrev_b32_e32 v35, 2, v35
	ds_store_b32 v35, v67 offset:5120
.LBB53_81:                              ;   in Loop: Header=BB53_2 Depth=1
	s_or_b32 exec_lo, exec_lo, s16
	s_waitcnt lgkmcnt(0)
	s_barrier
	buffer_gl0_inv
	s_and_saveexec_b32 s16, s10
	s_cbranch_execz .LBB53_83
; %bb.82:                               ;   in Loop: Header=BB53_2 Depth=1
	ds_store_b32 v0, v34 offset:4096
.LBB53_83:                              ;   in Loop: Header=BB53_2 Depth=1
	s_or_b32 exec_lo, exec_lo, s16
	s_waitcnt lgkmcnt(0)
	s_barrier
	buffer_gl0_inv
	s_and_saveexec_b32 s16, s0
	s_cbranch_execz .LBB53_1
; %bb.84:                               ;   in Loop: Header=BB53_2 Depth=1
	ds_load_2addr_stride64_b32 v[35:36], v98 offset0:16 offset1:20
	ds_load_b64 v[37:38], v83
	s_waitcnt lgkmcnt(1)
	v_sub_nc_u32_e32 v0, v36, v35
	s_waitcnt lgkmcnt(0)
	s_delay_alu instid0(VALU_DEP_1)
	v_add_co_u32 v35, vcc_lo, v37, v0
	v_add_co_ci_u32_e32 v36, vcc_lo, 0, v38, vcc_lo
	ds_store_b64 v83, v[35:36]
	s_branch .LBB53_1
.LBB53_85:
	s_and_saveexec_b32 s1, s0
	s_cbranch_execz .LBB53_87
; %bb.86:
	ds_load_b64 v[0:1], v83
	v_lshl_or_b32 v2, s15, 8, v33
	v_mov_b32_e32 v3, 0
	s_delay_alu instid0(VALU_DEP_1) | instskip(NEXT) | instid1(VALU_DEP_1)
	v_lshlrev_b64 v[2:3], 3, v[2:3]
	v_add_co_u32 v2, vcc_lo, s18, v2
	s_delay_alu instid0(VALU_DEP_2)
	v_add_co_ci_u32_e32 v3, vcc_lo, s19, v3, vcc_lo
	s_waitcnt lgkmcnt(0)
	global_store_b64 v[2:3], v[0:1], off
.LBB53_87:
	s_nop 0
	s_sendmsg sendmsg(MSG_DEALLOC_VGPRS)
	s_endpgm
	.section	.rodata,"a",@progbits
	.p2align	6, 0x0
	.amdhsa_kernel _Z6kernelI9histogramILN6hipcub23BlockHistogramAlgorithmE1EEyLj256ELj16ELj256ELj100EEvPKT0_PS4_
		.amdhsa_group_segment_fixed_size 34816
		.amdhsa_private_segment_fixed_size 0
		.amdhsa_kernarg_size 272
		.amdhsa_user_sgpr_count 15
		.amdhsa_user_sgpr_dispatch_ptr 0
		.amdhsa_user_sgpr_queue_ptr 0
		.amdhsa_user_sgpr_kernarg_segment_ptr 1
		.amdhsa_user_sgpr_dispatch_id 0
		.amdhsa_user_sgpr_private_segment_size 0
		.amdhsa_wavefront_size32 1
		.amdhsa_uses_dynamic_stack 0
		.amdhsa_enable_private_segment 0
		.amdhsa_system_sgpr_workgroup_id_x 1
		.amdhsa_system_sgpr_workgroup_id_y 0
		.amdhsa_system_sgpr_workgroup_id_z 0
		.amdhsa_system_sgpr_workgroup_info 0
		.amdhsa_system_vgpr_workitem_id 2
		.amdhsa_next_free_vgpr 125
		.amdhsa_next_free_sgpr 27
		.amdhsa_reserve_vcc 1
		.amdhsa_float_round_mode_32 0
		.amdhsa_float_round_mode_16_64 0
		.amdhsa_float_denorm_mode_32 3
		.amdhsa_float_denorm_mode_16_64 3
		.amdhsa_dx10_clamp 1
		.amdhsa_ieee_mode 1
		.amdhsa_fp16_overflow 0
		.amdhsa_workgroup_processor_mode 1
		.amdhsa_memory_ordered 1
		.amdhsa_forward_progress 0
		.amdhsa_shared_vgpr_count 0
		.amdhsa_exception_fp_ieee_invalid_op 0
		.amdhsa_exception_fp_denorm_src 0
		.amdhsa_exception_fp_ieee_div_zero 0
		.amdhsa_exception_fp_ieee_overflow 0
		.amdhsa_exception_fp_ieee_underflow 0
		.amdhsa_exception_fp_ieee_inexact 0
		.amdhsa_exception_int_div_zero 0
	.end_amdhsa_kernel
	.section	.text._Z6kernelI9histogramILN6hipcub23BlockHistogramAlgorithmE1EEyLj256ELj16ELj256ELj100EEvPKT0_PS4_,"axG",@progbits,_Z6kernelI9histogramILN6hipcub23BlockHistogramAlgorithmE1EEyLj256ELj16ELj256ELj100EEvPKT0_PS4_,comdat
.Lfunc_end53:
	.size	_Z6kernelI9histogramILN6hipcub23BlockHistogramAlgorithmE1EEyLj256ELj16ELj256ELj100EEvPKT0_PS4_, .Lfunc_end53-_Z6kernelI9histogramILN6hipcub23BlockHistogramAlgorithmE1EEyLj256ELj16ELj256ELj100EEvPKT0_PS4_
                                        ; -- End function
	.section	.AMDGPU.csdata,"",@progbits
; Kernel info:
; codeLenInByte = 8696
; NumSgprs: 29
; NumVgprs: 125
; ScratchSize: 0
; MemoryBound: 0
; FloatMode: 240
; IeeeMode: 1
; LDSByteSize: 34816 bytes/workgroup (compile time only)
; SGPRBlocks: 3
; VGPRBlocks: 15
; NumSGPRsForWavesPerEU: 29
; NumVGPRsForWavesPerEU: 125
; Occupancy: 6
; WaveLimiterHint : 0
; COMPUTE_PGM_RSRC2:SCRATCH_EN: 0
; COMPUTE_PGM_RSRC2:USER_SGPR: 15
; COMPUTE_PGM_RSRC2:TRAP_HANDLER: 0
; COMPUTE_PGM_RSRC2:TGID_X_EN: 1
; COMPUTE_PGM_RSRC2:TGID_Y_EN: 0
; COMPUTE_PGM_RSRC2:TGID_Z_EN: 0
; COMPUTE_PGM_RSRC2:TIDIG_COMP_CNT: 2
	.section	.text._Z6kernelI9histogramILN6hipcub23BlockHistogramAlgorithmE1EEyLj320ELj1ELj320ELj100EEvPKT0_PS4_,"axG",@progbits,_Z6kernelI9histogramILN6hipcub23BlockHistogramAlgorithmE1EEyLj320ELj1ELj320ELj100EEvPKT0_PS4_,comdat
	.protected	_Z6kernelI9histogramILN6hipcub23BlockHistogramAlgorithmE1EEyLj320ELj1ELj320ELj100EEvPKT0_PS4_ ; -- Begin function _Z6kernelI9histogramILN6hipcub23BlockHistogramAlgorithmE1EEyLj320ELj1ELj320ELj100EEvPKT0_PS4_
	.globl	_Z6kernelI9histogramILN6hipcub23BlockHistogramAlgorithmE1EEyLj320ELj1ELj320ELj100EEvPKT0_PS4_
	.p2align	8
	.type	_Z6kernelI9histogramILN6hipcub23BlockHistogramAlgorithmE1EEyLj320ELj1ELj320ELj100EEvPKT0_PS4_,@function
_Z6kernelI9histogramILN6hipcub23BlockHistogramAlgorithmE1EEyLj320ELj1ELj320ELj100EEvPKT0_PS4_: ; @_Z6kernelI9histogramILN6hipcub23BlockHistogramAlgorithmE1EEyLj320ELj1ELj320ELj100EEvPKT0_PS4_
; %bb.0:
	s_load_b128 s[16:19], s[0:1], 0x0
	v_dual_mov_b32 v11, 0 :: v_dual_and_b32 v10, 0x3ff, v0
	s_load_b32 s0, s[0:1], 0x1c
	v_bfe_u32 v3, v0, 10, 10
	v_bfe_u32 v0, v0, 20, 10
	s_delay_alu instid0(VALU_DEP_3) | instskip(SKIP_3) | instid1(VALU_DEP_3)
	v_lshlrev_b32_e32 v19, 5, v10
	v_mad_u64_u32 v[1:2], null, 0x140, s15, v[10:11]
	v_mov_b32_e32 v2, v11
	s_mov_b32 s14, 0
	v_mad_i32_i24 v23, 0xffffffe4, v10, v19
	s_mov_b32 s15, s14
	s_mov_b32 s12, s14
	;; [unrolled: 1-line block ×3, first 2 shown]
	s_delay_alu instid0(VALU_DEP_3)
	v_lshlrev_b64 v[8:9], 3, v[1:2]
	v_add_nc_u32_e32 v20, 40, v19
	v_cmp_gt_u32_e64 s7, 10, v10
	v_cmp_lt_u32_e64 s8, 31, v10
	v_cmp_eq_u32_e64 s10, 0, v10
	v_cmp_ne_u32_e64 s11, 0, v10
	s_waitcnt lgkmcnt(0)
	v_add_co_u32 v1, vcc_lo, s16, v8
	v_add_co_ci_u32_e32 v2, vcc_lo, s17, v9, vcc_lo
	s_lshr_b32 s1, s0, 16
	s_and_b32 s0, s0, 0xffff
	v_mad_u32_u24 v0, v0, s1, v3
	global_load_b64 v[1:2], v[1:2], off
	v_lshl_add_u32 v24, v10, 3, 0x2830
	v_dual_mov_b32 v13, s14 :: v_dual_mov_b32 v14, s15
	v_mad_u64_u32 v[3:4], null, v0, s0, v[10:11]
	v_mbcnt_lo_u32_b32 v0, -1, 0
	v_cmp_gt_u32_e64 s0, 0x140, v10
	v_dual_mov_b32 v16, s13 :: v_dual_mov_b32 v15, s12
	s_delay_alu instid0(VALU_DEP_3)
	v_dual_mov_b32 v30, 0x140 :: v_dual_add_nc_u32 v7, -1, v0
	v_and_b32_e32 v4, 15, v0
	v_lshrrev_b32_e32 v21, 5, v3
	v_and_b32_e32 v6, 16, v0
	v_cmp_eq_u32_e64 s9, 0, v0
	v_cmp_gt_i32_e32 vcc_lo, 0, v7
	v_and_b32_e32 v5, 0x1e0, v10
	v_cmp_eq_u32_e64 s1, 0, v4
	v_cmp_lt_u32_e64 s2, 1, v4
	v_cmp_lt_u32_e64 s3, 3, v4
	;; [unrolled: 1-line block ×3, first 2 shown]
	v_cndmask_b32_e32 v4, v7, v0, vcc_lo
	v_min_u32_e32 v3, 0x120, v5
	v_or_b32_e32 v0, v0, v5
	v_cmp_eq_u32_e64 s5, 0, v6
	s_delay_alu instid0(VALU_DEP_4) | instskip(NEXT) | instid1(VALU_DEP_4)
	v_lshlrev_b32_e32 v22, 2, v4
	v_or_b32_e32 v3, 31, v3
	v_lshlrev_b32_e32 v4, 2, v10
	v_lshlrev_b32_e32 v28, 3, v0
	s_delay_alu instid0(VALU_DEP_3) | instskip(SKIP_1) | instid1(VALU_DEP_4)
	v_cmp_eq_u32_e64 s6, v3, v10
	v_lshrrev_b32_e32 v3, 3, v10
	v_add_nc_u32_e32 v26, v23, v4
	v_sub_nc_u32_e32 v0, 0, v4
	s_delay_alu instid0(VALU_DEP_3) | instskip(NEXT) | instid1(VALU_DEP_3)
	v_and_b32_e32 v25, 60, v3
	v_add_nc_u32_e32 v29, -8, v26
	s_delay_alu instid0(VALU_DEP_3) | instskip(NEXT) | instid1(VALU_DEP_3)
	v_add_nc_u32_e32 v31, v26, v0
	v_add_nc_u32_e32 v27, -4, v25
	s_branch .LBB54_2
.LBB54_1:                               ;   in Loop: Header=BB54_2 Depth=1
	s_or_b32 exec_lo, exec_lo, s12
	s_add_i32 s14, s14, 1
	s_delay_alu instid0(SALU_CYCLE_1)
	s_cmpk_lg_i32 s14, 0x64
	s_cbranch_scc0 .LBB54_25
.LBB54_2:                               ; =>This Loop Header: Depth=1
                                        ;     Child Loop BB54_6 Depth 2
	s_and_saveexec_b32 s12, s0
	s_cbranch_execz .LBB54_4
; %bb.3:                                ;   in Loop: Header=BB54_2 Depth=1
	v_mov_b32_e32 v12, v11
	ds_store_b64 v24, v[11:12]
.LBB54_4:                               ;   in Loop: Header=BB54_2 Depth=1
	s_or_b32 exec_lo, exec_lo, s12
	s_mov_b64 s[16:17], 0
	s_waitcnt vmcnt(0) lgkmcnt(0)
	s_barrier
	s_branch .LBB54_6
.LBB54_5:                               ;   in Loop: Header=BB54_6 Depth=2
	s_delay_alu instid0(VALU_DEP_1)
	v_lshlrev_b32_e32 v1, 3, v0
	s_barrier
	buffer_gl0_inv
	s_add_u32 s16, s16, 8
	ds_store_b64 v1, v[17:18]
	s_waitcnt lgkmcnt(0)
	s_barrier
	buffer_gl0_inv
	ds_load_b64 v[1:2], v28
	s_addc_u32 s17, s17, 0
	s_waitcnt lgkmcnt(0)
	s_barrier
	s_cbranch_execz .LBB54_16
.LBB54_6:                               ;   Parent Loop BB54_2 Depth=1
                                        ; =>  This Inner Loop Header: Depth=2
	v_dual_mov_b32 v18, v2 :: v_dual_mov_b32 v17, v1
	buffer_gl0_inv
	ds_store_2addr_b64 v19, v[13:14], v[15:16] offset0:5 offset1:6
	ds_store_2addr_b64 v20, v[13:14], v[15:16] offset0:2 offset1:3
	s_waitcnt lgkmcnt(0)
	s_barrier
	v_lshrrev_b64 v[1:2], s16, v[17:18]
	buffer_gl0_inv
	; wave barrier
	v_and_b32_e32 v0, 1, v1
	v_lshlrev_b32_e32 v2, 30, v1
	v_lshlrev_b32_e32 v3, 29, v1
	;; [unrolled: 1-line block ×4, first 2 shown]
	v_add_co_u32 v0, s12, v0, -1
	s_delay_alu instid0(VALU_DEP_1)
	v_cndmask_b32_e64 v5, 0, 1, s12
	v_not_b32_e32 v32, v2
	v_cmp_gt_i32_e64 s12, 0, v2
	v_not_b32_e32 v2, v3
	v_lshlrev_b32_e32 v7, 26, v1
	v_cmp_ne_u32_e32 vcc_lo, 0, v5
	v_ashrrev_i32_e32 v32, 31, v32
	v_lshlrev_b32_e32 v12, 25, v1
	v_ashrrev_i32_e32 v2, 31, v2
	v_lshlrev_b32_e32 v5, 24, v1
	v_xor_b32_e32 v0, vcc_lo, v0
	v_cmp_gt_i32_e32 vcc_lo, 0, v3
	v_not_b32_e32 v3, v4
	v_xor_b32_e32 v32, s12, v32
	v_cmp_gt_i32_e64 s12, 0, v4
	v_and_b32_e32 v0, exec_lo, v0
	v_not_b32_e32 v4, v6
	v_ashrrev_i32_e32 v3, 31, v3
	v_xor_b32_e32 v2, vcc_lo, v2
	v_cmp_gt_i32_e32 vcc_lo, 0, v6
	v_and_b32_e32 v0, v0, v32
	v_not_b32_e32 v6, v7
	v_ashrrev_i32_e32 v4, 31, v4
	v_xor_b32_e32 v3, s12, v3
	v_cmp_gt_i32_e64 s12, 0, v7
	v_and_b32_e32 v0, v0, v2
	v_not_b32_e32 v2, v12
	v_ashrrev_i32_e32 v6, 31, v6
	v_xor_b32_e32 v4, vcc_lo, v4
	v_cmp_gt_i32_e32 vcc_lo, 0, v12
	v_and_b32_e32 v0, v0, v3
	v_not_b32_e32 v3, v5
	v_ashrrev_i32_e32 v2, 31, v2
	v_xor_b32_e32 v6, s12, v6
	v_cmp_gt_i32_e64 s12, 0, v5
	v_and_b32_e32 v0, v0, v4
	v_ashrrev_i32_e32 v3, 31, v3
	v_xor_b32_e32 v2, vcc_lo, v2
	v_and_b32_e32 v1, 0xff, v1
	s_delay_alu instid0(VALU_DEP_4) | instskip(NEXT) | instid1(VALU_DEP_4)
	v_and_b32_e32 v0, v0, v6
	v_xor_b32_e32 v3, s12, v3
	s_delay_alu instid0(VALU_DEP_3) | instskip(NEXT) | instid1(VALU_DEP_3)
	v_mad_u32_u24 v1, v1, 10, v21
	v_and_b32_e32 v0, v0, v2
	s_delay_alu instid0(VALU_DEP_2) | instskip(NEXT) | instid1(VALU_DEP_2)
	v_lshl_add_u32 v32, v1, 2, 40
	v_and_b32_e32 v0, v0, v3
	s_delay_alu instid0(VALU_DEP_1) | instskip(SKIP_1) | instid1(VALU_DEP_2)
	v_mbcnt_lo_u32_b32 v12, v0, 0
	v_cmp_ne_u32_e64 s12, 0, v0
	v_cmp_eq_u32_e32 vcc_lo, 0, v12
	s_delay_alu instid0(VALU_DEP_2) | instskip(NEXT) | instid1(SALU_CYCLE_1)
	s_and_b32 s13, s12, vcc_lo
	s_and_saveexec_b32 s12, s13
	s_cbranch_execz .LBB54_8
; %bb.7:                                ;   in Loop: Header=BB54_6 Depth=2
	v_bcnt_u32_b32 v0, v0, 0
	ds_store_b32 v32, v0
.LBB54_8:                               ;   in Loop: Header=BB54_6 Depth=2
	s_or_b32 exec_lo, exec_lo, s12
	; wave barrier
	s_waitcnt lgkmcnt(0)
	s_barrier
	buffer_gl0_inv
	ds_load_2addr_b64 v[4:7], v19 offset0:5 offset1:6
	ds_load_2addr_b64 v[0:3], v20 offset0:2 offset1:3
	s_waitcnt lgkmcnt(1)
	v_add_nc_u32_e32 v33, v5, v4
	s_delay_alu instid0(VALU_DEP_1) | instskip(SKIP_1) | instid1(VALU_DEP_1)
	v_add3_u32 v33, v33, v6, v7
	s_waitcnt lgkmcnt(0)
	v_add3_u32 v33, v33, v0, v1
	s_delay_alu instid0(VALU_DEP_1) | instskip(NEXT) | instid1(VALU_DEP_1)
	v_add3_u32 v3, v33, v2, v3
	v_mov_b32_dpp v33, v3 row_shr:1 row_mask:0xf bank_mask:0xf
	s_delay_alu instid0(VALU_DEP_1) | instskip(NEXT) | instid1(VALU_DEP_1)
	v_cndmask_b32_e64 v33, v33, 0, s1
	v_add_nc_u32_e32 v3, v33, v3
	s_delay_alu instid0(VALU_DEP_1) | instskip(NEXT) | instid1(VALU_DEP_1)
	v_mov_b32_dpp v33, v3 row_shr:2 row_mask:0xf bank_mask:0xf
	v_cndmask_b32_e64 v33, 0, v33, s2
	s_delay_alu instid0(VALU_DEP_1) | instskip(NEXT) | instid1(VALU_DEP_1)
	v_add_nc_u32_e32 v3, v3, v33
	v_mov_b32_dpp v33, v3 row_shr:4 row_mask:0xf bank_mask:0xf
	s_delay_alu instid0(VALU_DEP_1) | instskip(NEXT) | instid1(VALU_DEP_1)
	v_cndmask_b32_e64 v33, 0, v33, s3
	v_add_nc_u32_e32 v3, v3, v33
	s_delay_alu instid0(VALU_DEP_1) | instskip(NEXT) | instid1(VALU_DEP_1)
	v_mov_b32_dpp v33, v3 row_shr:8 row_mask:0xf bank_mask:0xf
	v_cndmask_b32_e64 v33, 0, v33, s4
	s_delay_alu instid0(VALU_DEP_1) | instskip(SKIP_3) | instid1(VALU_DEP_1)
	v_add_nc_u32_e32 v3, v3, v33
	ds_swizzle_b32 v33, v3 offset:swizzle(BROADCAST,32,15)
	s_waitcnt lgkmcnt(0)
	v_cndmask_b32_e64 v33, v33, 0, s5
	v_add_nc_u32_e32 v3, v3, v33
	s_and_saveexec_b32 s12, s6
	s_cbranch_execz .LBB54_10
; %bb.9:                                ;   in Loop: Header=BB54_6 Depth=2
	ds_store_b32 v25, v3
.LBB54_10:                              ;   in Loop: Header=BB54_6 Depth=2
	s_or_b32 exec_lo, exec_lo, s12
	s_waitcnt lgkmcnt(0)
	s_barrier
	buffer_gl0_inv
	s_and_saveexec_b32 s12, s7
	s_cbranch_execz .LBB54_12
; %bb.11:                               ;   in Loop: Header=BB54_6 Depth=2
	ds_load_b32 v33, v23
	s_waitcnt lgkmcnt(0)
	v_mov_b32_dpp v34, v33 row_shr:1 row_mask:0xf bank_mask:0xf
	s_delay_alu instid0(VALU_DEP_1) | instskip(NEXT) | instid1(VALU_DEP_1)
	v_cndmask_b32_e64 v34, v34, 0, s1
	v_add_nc_u32_e32 v33, v34, v33
	s_delay_alu instid0(VALU_DEP_1) | instskip(NEXT) | instid1(VALU_DEP_1)
	v_mov_b32_dpp v34, v33 row_shr:2 row_mask:0xf bank_mask:0xf
	v_cndmask_b32_e64 v34, 0, v34, s2
	s_delay_alu instid0(VALU_DEP_1) | instskip(NEXT) | instid1(VALU_DEP_1)
	v_add_nc_u32_e32 v33, v33, v34
	v_mov_b32_dpp v34, v33 row_shr:4 row_mask:0xf bank_mask:0xf
	s_delay_alu instid0(VALU_DEP_1) | instskip(NEXT) | instid1(VALU_DEP_1)
	v_cndmask_b32_e64 v34, 0, v34, s3
	v_add_nc_u32_e32 v33, v33, v34
	s_delay_alu instid0(VALU_DEP_1) | instskip(NEXT) | instid1(VALU_DEP_1)
	v_mov_b32_dpp v34, v33 row_shr:8 row_mask:0xf bank_mask:0xf
	v_cndmask_b32_e64 v34, 0, v34, s4
	s_delay_alu instid0(VALU_DEP_1)
	v_add_nc_u32_e32 v33, v33, v34
	ds_store_b32 v23, v33
.LBB54_12:                              ;   in Loop: Header=BB54_6 Depth=2
	s_or_b32 exec_lo, exec_lo, s12
	v_mov_b32_e32 v33, 0
	s_waitcnt lgkmcnt(0)
	s_barrier
	buffer_gl0_inv
	s_and_saveexec_b32 s12, s8
	s_cbranch_execz .LBB54_14
; %bb.13:                               ;   in Loop: Header=BB54_6 Depth=2
	ds_load_b32 v33, v27
.LBB54_14:                              ;   in Loop: Header=BB54_6 Depth=2
	s_or_b32 exec_lo, exec_lo, s12
	s_waitcnt lgkmcnt(0)
	v_add_nc_u32_e32 v3, v33, v3
	s_cmp_gt_u32 s16, 55
	ds_bpermute_b32 v3, v22, v3
	s_waitcnt lgkmcnt(0)
	v_cndmask_b32_e64 v3, v3, v33, s9
	s_delay_alu instid0(VALU_DEP_1) | instskip(NEXT) | instid1(VALU_DEP_1)
	v_cndmask_b32_e64 v3, v3, 0, s10
	v_add_nc_u32_e32 v4, v3, v4
	s_delay_alu instid0(VALU_DEP_1) | instskip(NEXT) | instid1(VALU_DEP_1)
	v_add_nc_u32_e32 v5, v4, v5
	v_add_nc_u32_e32 v6, v5, v6
	s_delay_alu instid0(VALU_DEP_1) | instskip(NEXT) | instid1(VALU_DEP_1)
	v_add_nc_u32_e32 v33, v6, v7
	;; [unrolled: 3-line block ×3, first 2 shown]
	v_add_nc_u32_e32 v1, v0, v2
	ds_store_2addr_b64 v19, v[3:4], v[5:6] offset0:5 offset1:6
	ds_store_2addr_b64 v20, v[33:34], v[0:1] offset0:2 offset1:3
	s_waitcnt lgkmcnt(0)
	s_barrier
	buffer_gl0_inv
	ds_load_b32 v0, v32
	s_waitcnt lgkmcnt(0)
	v_add_nc_u32_e32 v0, v0, v12
	s_cbranch_scc0 .LBB54_5
; %bb.15:                               ;   in Loop: Header=BB54_2 Depth=1
                                        ; implicit-def: $vgpr1_vgpr2
                                        ; implicit-def: $sgpr16_sgpr17
.LBB54_16:                              ;   in Loop: Header=BB54_2 Depth=1
	s_delay_alu instid0(VALU_DEP_1)
	v_lshlrev_b32_e32 v0, 3, v0
	s_barrier
	buffer_gl0_inv
	ds_store_b64 v0, v[17:18]
	s_waitcnt lgkmcnt(0)
	s_barrier
	buffer_gl0_inv
	ds_load_b64 v[1:2], v26
	s_waitcnt lgkmcnt(0)
	s_barrier
	buffer_gl0_inv
	s_and_saveexec_b32 s12, s0
	s_cbranch_execz .LBB54_18
; %bb.17:                               ;   in Loop: Header=BB54_2 Depth=1
	ds_store_2addr_stride64_b32 v31, v30, v30 offset0:20 offset1:25
.LBB54_18:                              ;   in Loop: Header=BB54_2 Depth=1
	s_or_b32 exec_lo, exec_lo, s12
	s_waitcnt lgkmcnt(0)
	s_barrier
	buffer_gl0_inv
	ds_store_b64 v26, v[1:2]
	s_waitcnt lgkmcnt(0)
	s_barrier
	buffer_gl0_inv
	s_and_saveexec_b32 s12, s11
	s_cbranch_execz .LBB54_21
; %bb.19:                               ;   in Loop: Header=BB54_2 Depth=1
	ds_load_b32 v0, v29
	s_waitcnt lgkmcnt(0)
	v_cmp_ne_u32_e32 vcc_lo, v0, v1
	s_and_b32 exec_lo, exec_lo, vcc_lo
	s_cbranch_execz .LBB54_21
; %bb.20:                               ;   in Loop: Header=BB54_2 Depth=1
	v_lshlrev_b32_e32 v0, 2, v1
	ds_store_b32 v0, v10 offset:5120
	ds_load_b32 v0, v29
	s_waitcnt lgkmcnt(0)
	v_lshlrev_b32_e32 v0, 2, v0
	ds_store_b32 v0, v10 offset:6400
.LBB54_21:                              ;   in Loop: Header=BB54_2 Depth=1
	s_or_b32 exec_lo, exec_lo, s12
	s_waitcnt lgkmcnt(0)
	s_barrier
	buffer_gl0_inv
	s_and_saveexec_b32 s12, s10
	s_cbranch_execz .LBB54_23
; %bb.22:                               ;   in Loop: Header=BB54_2 Depth=1
	v_lshlrev_b32_e32 v0, 2, v1
	ds_store_b32 v0, v11 offset:5120
.LBB54_23:                              ;   in Loop: Header=BB54_2 Depth=1
	s_or_b32 exec_lo, exec_lo, s12
	s_waitcnt lgkmcnt(0)
	s_barrier
	buffer_gl0_inv
	s_and_saveexec_b32 s12, s0
	s_cbranch_execz .LBB54_1
; %bb.24:                               ;   in Loop: Header=BB54_2 Depth=1
	ds_load_2addr_stride64_b32 v[3:4], v31 offset0:20 offset1:25
	ds_load_b64 v[5:6], v24
	s_waitcnt lgkmcnt(1)
	v_sub_nc_u32_e32 v0, v4, v3
	s_waitcnt lgkmcnt(0)
	s_delay_alu instid0(VALU_DEP_1)
	v_add_co_u32 v3, vcc_lo, v5, v0
	v_add_co_ci_u32_e32 v4, vcc_lo, 0, v6, vcc_lo
	ds_store_b64 v24, v[3:4]
	s_branch .LBB54_1
.LBB54_25:
	s_and_saveexec_b32 s1, s0
	s_cbranch_execz .LBB54_27
; %bb.26:
	ds_load_b64 v[0:1], v24
	v_add_co_u32 v2, vcc_lo, s18, v8
	v_add_co_ci_u32_e32 v3, vcc_lo, s19, v9, vcc_lo
	s_waitcnt lgkmcnt(0)
	global_store_b64 v[2:3], v[0:1], off
.LBB54_27:
	s_nop 0
	s_sendmsg sendmsg(MSG_DEALLOC_VGPRS)
	s_endpgm
	.section	.rodata,"a",@progbits
	.p2align	6, 0x0
	.amdhsa_kernel _Z6kernelI9histogramILN6hipcub23BlockHistogramAlgorithmE1EEyLj320ELj1ELj320ELj100EEvPKT0_PS4_
		.amdhsa_group_segment_fixed_size 12848
		.amdhsa_private_segment_fixed_size 0
		.amdhsa_kernarg_size 272
		.amdhsa_user_sgpr_count 15
		.amdhsa_user_sgpr_dispatch_ptr 0
		.amdhsa_user_sgpr_queue_ptr 0
		.amdhsa_user_sgpr_kernarg_segment_ptr 1
		.amdhsa_user_sgpr_dispatch_id 0
		.amdhsa_user_sgpr_private_segment_size 0
		.amdhsa_wavefront_size32 1
		.amdhsa_uses_dynamic_stack 0
		.amdhsa_enable_private_segment 0
		.amdhsa_system_sgpr_workgroup_id_x 1
		.amdhsa_system_sgpr_workgroup_id_y 0
		.amdhsa_system_sgpr_workgroup_id_z 0
		.amdhsa_system_sgpr_workgroup_info 0
		.amdhsa_system_vgpr_workitem_id 2
		.amdhsa_next_free_vgpr 35
		.amdhsa_next_free_sgpr 20
		.amdhsa_reserve_vcc 1
		.amdhsa_float_round_mode_32 0
		.amdhsa_float_round_mode_16_64 0
		.amdhsa_float_denorm_mode_32 3
		.amdhsa_float_denorm_mode_16_64 3
		.amdhsa_dx10_clamp 1
		.amdhsa_ieee_mode 1
		.amdhsa_fp16_overflow 0
		.amdhsa_workgroup_processor_mode 1
		.amdhsa_memory_ordered 1
		.amdhsa_forward_progress 0
		.amdhsa_shared_vgpr_count 0
		.amdhsa_exception_fp_ieee_invalid_op 0
		.amdhsa_exception_fp_denorm_src 0
		.amdhsa_exception_fp_ieee_div_zero 0
		.amdhsa_exception_fp_ieee_overflow 0
		.amdhsa_exception_fp_ieee_underflow 0
		.amdhsa_exception_fp_ieee_inexact 0
		.amdhsa_exception_int_div_zero 0
	.end_amdhsa_kernel
	.section	.text._Z6kernelI9histogramILN6hipcub23BlockHistogramAlgorithmE1EEyLj320ELj1ELj320ELj100EEvPKT0_PS4_,"axG",@progbits,_Z6kernelI9histogramILN6hipcub23BlockHistogramAlgorithmE1EEyLj320ELj1ELj320ELj100EEvPKT0_PS4_,comdat
.Lfunc_end54:
	.size	_Z6kernelI9histogramILN6hipcub23BlockHistogramAlgorithmE1EEyLj320ELj1ELj320ELj100EEvPKT0_PS4_, .Lfunc_end54-_Z6kernelI9histogramILN6hipcub23BlockHistogramAlgorithmE1EEyLj320ELj1ELj320ELj100EEvPKT0_PS4_
                                        ; -- End function
	.section	.AMDGPU.csdata,"",@progbits
; Kernel info:
; codeLenInByte = 1848
; NumSgprs: 22
; NumVgprs: 35
; ScratchSize: 0
; MemoryBound: 0
; FloatMode: 240
; IeeeMode: 1
; LDSByteSize: 12848 bytes/workgroup (compile time only)
; SGPRBlocks: 2
; VGPRBlocks: 4
; NumSGPRsForWavesPerEU: 22
; NumVGPRsForWavesPerEU: 35
; Occupancy: 15
; WaveLimiterHint : 0
; COMPUTE_PGM_RSRC2:SCRATCH_EN: 0
; COMPUTE_PGM_RSRC2:USER_SGPR: 15
; COMPUTE_PGM_RSRC2:TRAP_HANDLER: 0
; COMPUTE_PGM_RSRC2:TGID_X_EN: 1
; COMPUTE_PGM_RSRC2:TGID_Y_EN: 0
; COMPUTE_PGM_RSRC2:TGID_Z_EN: 0
; COMPUTE_PGM_RSRC2:TIDIG_COMP_CNT: 2
	.section	.text._Z6kernelI9histogramILN6hipcub23BlockHistogramAlgorithmE1EEyLj320ELj2ELj320ELj100EEvPKT0_PS4_,"axG",@progbits,_Z6kernelI9histogramILN6hipcub23BlockHistogramAlgorithmE1EEyLj320ELj2ELj320ELj100EEvPKT0_PS4_,comdat
	.protected	_Z6kernelI9histogramILN6hipcub23BlockHistogramAlgorithmE1EEyLj320ELj2ELj320ELj100EEvPKT0_PS4_ ; -- Begin function _Z6kernelI9histogramILN6hipcub23BlockHistogramAlgorithmE1EEyLj320ELj2ELj320ELj100EEvPKT0_PS4_
	.globl	_Z6kernelI9histogramILN6hipcub23BlockHistogramAlgorithmE1EEyLj320ELj2ELj320ELj100EEvPKT0_PS4_
	.p2align	8
	.type	_Z6kernelI9histogramILN6hipcub23BlockHistogramAlgorithmE1EEyLj320ELj2ELj320ELj100EEvPKT0_PS4_,@function
_Z6kernelI9histogramILN6hipcub23BlockHistogramAlgorithmE1EEyLj320ELj2ELj320ELj100EEvPKT0_PS4_: ; @_Z6kernelI9histogramILN6hipcub23BlockHistogramAlgorithmE1EEyLj320ELj2ELj320ELj100EEvPKT0_PS4_
; %bb.0:
	v_and_b32_e32 v5, 0x3ff, v0
	s_load_b128 s[16:19], s[0:1], 0x0
	v_mbcnt_lo_u32_b32 v10, -1, 0
	s_load_b32 s1, s[0:1], 0x1c
	s_mov_b32 s14, 0
	v_mad_u64_u32 v[8:9], null, 0x140, s15, v[5:6]
	s_delay_alu instid0(VALU_DEP_2) | instskip(SKIP_3) | instid1(VALU_DEP_4)
	v_dual_mov_b32 v9, 0 :: v_dual_add_nc_u32 v12, -1, v10
	v_mov_b32_e32 v35, 0x280
	v_bfe_u32 v6, v0, 10, 10
	v_bfe_u32 v0, v0, 20, 10
	v_dual_mov_b32 v2, v9 :: v_dual_lshlrev_b32 v1, 1, v8
	s_mov_b32 s15, s14
	v_lshlrev_b32_e32 v7, 1, v10
	v_lshlrev_b32_e32 v20, 5, v5
	;; [unrolled: 1-line block ×3, first 2 shown]
	v_lshlrev_b64 v[1:2], 3, v[1:2]
	v_cmp_gt_u32_e64 s0, 0x140, v5
	v_and_b32_e32 v19, 60, v7
	v_mad_i32_i24 v25, 0xffffffe4, v5, v20
	v_cmp_gt_u32_e64 s8, 10, v5
	s_waitcnt lgkmcnt(0)
	s_lshr_b32 s2, s1, 16
	v_add_co_u32 v1, vcc_lo, s16, v1
	v_add_co_ci_u32_e32 v2, vcc_lo, s17, v2, vcc_lo
	v_mad_u32_u24 v0, v0, s2, v6
	s_and_b32 s1, s1, 0xffff
	v_cmp_gt_i32_e32 vcc_lo, 0, v12
	global_load_b128 v[1:4], v[1:2], off
	s_mov_b32 s16, s14
	v_mad_u64_u32 v[6:7], null, v0, s1, v[5:6]
	v_and_b32_e32 v7, 0x1e0, v5
	v_and_b32_e32 v0, 15, v10
	s_mov_b32 s17, s14
	v_and_b32_e32 v11, 1, v10
	v_dual_mov_b32 v13, s16 :: v_dual_add_nc_u32 v22, 40, v20
	v_lshrrev_b32_e32 v23, 5, v6
	v_min_u32_e32 v6, 0x120, v7
	v_cmp_eq_u32_e64 s2, 0, v0
	v_cmp_lt_u32_e64 s3, 1, v0
	v_cmp_lt_u32_e64 s4, 3, v0
	;; [unrolled: 1-line block ×3, first 2 shown]
	v_or_b32_e32 v6, 31, v6
	v_cndmask_b32_e32 v0, v12, v10, vcc_lo
	v_cmp_lt_u32_e64 s9, 31, v5
	v_cmp_eq_u32_e64 s11, 0, v5
	v_mad_u32_u24 v29, v5, 12, v25
	v_cmp_eq_u32_e64 s7, v6, v5
	v_lshrrev_b32_e32 v6, 3, v5
	v_lshlrev_b32_e32 v24, 2, v0
	v_and_or_b32 v0, 0x3c0, v26, v10
	v_cmp_ne_u32_e64 s12, 0, v5
	v_mov_b32_e32 v14, s17
	v_cmp_eq_u32_e64 s1, 0, v11
	v_lshlrev_b32_e32 v11, 3, v5
	v_lshlrev_b32_e32 v5, 2, v5
	v_and_b32_e32 v7, 16, v10
	v_and_b32_e32 v28, 60, v6
	v_lshlrev_b32_e32 v32, 3, v0
	v_sub_nc_u32_e32 v31, v29, v11
	v_sub_nc_u32_e32 v0, 0, v5
	v_add_nc_u32_e32 v27, 0x2830, v11
	v_mov_b32_e32 v11, s14
	v_or_b32_e32 v21, 64, v19
	v_cmp_eq_u32_e64 s6, 0, v7
	v_cmp_eq_u32_e64 s10, 0, v10
	v_add_nc_u32_e32 v30, -4, v28
	v_or_b32_e32 v33, 1, v26
	v_add_nc_u32_e32 v34, -8, v31
	v_mov_b32_e32 v12, s15
	v_add_nc_u32_e32 v36, v31, v0
	s_branch .LBB55_2
.LBB55_1:                               ;   in Loop: Header=BB55_2 Depth=1
	s_or_b32 exec_lo, exec_lo, s13
	s_add_i32 s14, s14, 1
	s_delay_alu instid0(SALU_CYCLE_1)
	s_cmpk_lg_i32 s14, 0x64
	s_cbranch_scc0 .LBB55_29
.LBB55_2:                               ; =>This Loop Header: Depth=1
                                        ;     Child Loop BB55_6 Depth 2
	s_and_saveexec_b32 s13, s0
	s_cbranch_execz .LBB55_4
; %bb.3:                                ;   in Loop: Header=BB55_2 Depth=1
	v_mov_b32_e32 v10, v9
	ds_store_b64 v27, v[9:10]
.LBB55_4:                               ;   in Loop: Header=BB55_2 Depth=1
	s_or_b32 exec_lo, exec_lo, s13
	s_waitcnt vmcnt(0)
	ds_bpermute_b32 v0, v19, v1
	ds_bpermute_b32 v5, v19, v2
	;; [unrolled: 1-line block ×8, first 2 shown]
	s_mov_b64 s[16:17], 0
	s_waitcnt lgkmcnt(0)
	s_barrier
	buffer_gl0_inv
	s_barrier
	v_cndmask_b32_e64 v0, v6, v0, s1
	v_cndmask_b32_e64 v1, v7, v5, s1
	;; [unrolled: 1-line block ×4, first 2 shown]
	s_branch .LBB55_6
.LBB55_5:                               ;   in Loop: Header=BB55_6 Depth=2
	s_delay_alu instid0(VALU_DEP_2) | instskip(NEXT) | instid1(VALU_DEP_2)
	v_lshlrev_b32_e32 v0, 3, v5
	v_lshlrev_b32_e32 v1, 3, v4
	s_barrier
	buffer_gl0_inv
	ds_store_b64 v0, v[15:16]
	ds_store_b64 v1, v[17:18]
	s_waitcnt lgkmcnt(0)
	s_barrier
	buffer_gl0_inv
	ds_load_2addr_b64 v[0:3], v32 offset1:32
	s_add_u32 s16, s16, 8
	s_addc_u32 s17, s17, 0
	s_waitcnt lgkmcnt(0)
	s_barrier
	s_cbranch_execz .LBB55_18
.LBB55_6:                               ;   Parent Loop BB55_2 Depth=1
                                        ; =>  This Inner Loop Header: Depth=2
	s_delay_alu instid0(VALU_DEP_3)
	v_dual_mov_b32 v16, v1 :: v_dual_mov_b32 v15, v0
	buffer_gl0_inv
	ds_store_2addr_b64 v20, v[11:12], v[13:14] offset0:5 offset1:6
	ds_store_2addr_b64 v22, v[11:12], v[13:14] offset0:2 offset1:3
	s_waitcnt lgkmcnt(0)
	s_barrier
	v_lshrrev_b64 v[4:5], s16, v[15:16]
	buffer_gl0_inv
	; wave barrier
	v_and_b32_e32 v0, 1, v4
	v_lshlrev_b32_e32 v1, 30, v4
	v_lshlrev_b32_e32 v5, 29, v4
	;; [unrolled: 1-line block ×4, first 2 shown]
	v_add_co_u32 v0, s13, v0, -1
	s_delay_alu instid0(VALU_DEP_1)
	v_cndmask_b32_e64 v7, 0, 1, s13
	v_not_b32_e32 v37, v1
	v_cmp_gt_i32_e64 s13, 0, v1
	v_not_b32_e32 v1, v5
	v_lshlrev_b32_e32 v17, 26, v4
	v_cmp_ne_u32_e32 vcc_lo, 0, v7
	v_ashrrev_i32_e32 v37, 31, v37
	v_lshlrev_b32_e32 v18, 25, v4
	v_ashrrev_i32_e32 v1, 31, v1
	v_lshlrev_b32_e32 v7, 24, v4
	v_xor_b32_e32 v0, vcc_lo, v0
	v_cmp_gt_i32_e32 vcc_lo, 0, v5
	v_not_b32_e32 v5, v6
	v_xor_b32_e32 v37, s13, v37
	v_cmp_gt_i32_e64 s13, 0, v6
	v_and_b32_e32 v0, exec_lo, v0
	v_not_b32_e32 v6, v10
	v_ashrrev_i32_e32 v5, 31, v5
	v_xor_b32_e32 v1, vcc_lo, v1
	v_cmp_gt_i32_e32 vcc_lo, 0, v10
	v_and_b32_e32 v0, v0, v37
	v_not_b32_e32 v10, v17
	v_ashrrev_i32_e32 v6, 31, v6
	v_xor_b32_e32 v5, s13, v5
	v_cmp_gt_i32_e64 s13, 0, v17
	v_and_b32_e32 v0, v0, v1
	v_not_b32_e32 v1, v18
	v_ashrrev_i32_e32 v10, 31, v10
	v_xor_b32_e32 v6, vcc_lo, v6
	v_cmp_gt_i32_e32 vcc_lo, 0, v18
	v_mov_b32_e32 v18, v3
	v_and_b32_e32 v0, v0, v5
	v_not_b32_e32 v5, v7
	v_ashrrev_i32_e32 v1, 31, v1
	v_xor_b32_e32 v10, s13, v10
	v_cmp_gt_i32_e64 s13, 0, v7
	v_and_b32_e32 v0, v0, v6
	v_ashrrev_i32_e32 v5, 31, v5
	v_xor_b32_e32 v1, vcc_lo, v1
	s_delay_alu instid0(VALU_DEP_3) | instskip(NEXT) | instid1(VALU_DEP_3)
	v_dual_mov_b32 v17, v2 :: v_dual_and_b32 v0, v0, v10
	v_xor_b32_e32 v5, s13, v5
	s_delay_alu instid0(VALU_DEP_2) | instskip(SKIP_1) | instid1(VALU_DEP_2)
	v_and_b32_e32 v0, v0, v1
	v_and_b32_e32 v1, 0xff, v4
	;; [unrolled: 1-line block ×3, first 2 shown]
	s_delay_alu instid0(VALU_DEP_2) | instskip(NEXT) | instid1(VALU_DEP_2)
	v_mad_u32_u24 v1, v1, 10, v23
	v_mbcnt_lo_u32_b32 v10, v0, 0
	v_cmp_ne_u32_e64 s13, 0, v0
	s_delay_alu instid0(VALU_DEP_3) | instskip(NEXT) | instid1(VALU_DEP_3)
	v_lshl_add_u32 v37, v1, 2, 40
	v_cmp_eq_u32_e32 vcc_lo, 0, v10
	s_delay_alu instid0(VALU_DEP_3) | instskip(NEXT) | instid1(SALU_CYCLE_1)
	s_and_b32 s15, s13, vcc_lo
	s_and_saveexec_b32 s13, s15
	s_cbranch_execz .LBB55_8
; %bb.7:                                ;   in Loop: Header=BB55_6 Depth=2
	v_bcnt_u32_b32 v0, v0, 0
	ds_store_b32 v37, v0
.LBB55_8:                               ;   in Loop: Header=BB55_6 Depth=2
	s_or_b32 exec_lo, exec_lo, s13
	v_lshrrev_b64 v[0:1], s16, v[17:18]
	; wave barrier
	s_delay_alu instid0(VALU_DEP_1)
	v_and_b32_e32 v2, 1, v0
	v_lshlrev_b32_e32 v3, 30, v0
	v_lshlrev_b32_e32 v4, 29, v0
	;; [unrolled: 1-line block ×4, first 2 shown]
	v_add_co_u32 v2, s13, v2, -1
	s_delay_alu instid0(VALU_DEP_1)
	v_cndmask_b32_e64 v6, 0, 1, s13
	v_not_b32_e32 v40, v3
	v_cmp_gt_i32_e64 s13, 0, v3
	v_not_b32_e32 v3, v4
	v_lshlrev_b32_e32 v38, 26, v0
	v_cmp_ne_u32_e32 vcc_lo, 0, v6
	v_ashrrev_i32_e32 v6, 31, v40
	v_lshlrev_b32_e32 v39, 25, v0
	v_ashrrev_i32_e32 v3, 31, v3
	v_and_b32_e32 v1, 0xff, v0
	v_xor_b32_e32 v2, vcc_lo, v2
	v_cmp_gt_i32_e32 vcc_lo, 0, v4
	v_not_b32_e32 v4, v5
	v_xor_b32_e32 v6, s13, v6
	v_cmp_gt_i32_e64 s13, 0, v5
	v_and_b32_e32 v2, exec_lo, v2
	v_not_b32_e32 v5, v7
	v_ashrrev_i32_e32 v4, 31, v4
	v_xor_b32_e32 v3, vcc_lo, v3
	v_cmp_gt_i32_e32 vcc_lo, 0, v7
	v_and_b32_e32 v2, v2, v6
	v_not_b32_e32 v6, v38
	v_ashrrev_i32_e32 v5, 31, v5
	v_xor_b32_e32 v4, s13, v4
	v_lshlrev_b32_e32 v0, 24, v0
	v_and_b32_e32 v2, v2, v3
	v_cmp_gt_i32_e64 s13, 0, v38
	v_not_b32_e32 v3, v39
	v_ashrrev_i32_e32 v6, 31, v6
	v_xor_b32_e32 v5, vcc_lo, v5
	v_and_b32_e32 v2, v2, v4
	v_cmp_gt_i32_e32 vcc_lo, 0, v39
	v_not_b32_e32 v4, v0
	v_ashrrev_i32_e32 v3, 31, v3
	v_xor_b32_e32 v6, s13, v6
	v_and_b32_e32 v2, v2, v5
	v_mul_u32_u24_e32 v1, 10, v1
	v_cmp_gt_i32_e64 s13, 0, v0
	v_ashrrev_i32_e32 v0, 31, v4
	v_xor_b32_e32 v3, vcc_lo, v3
	v_and_b32_e32 v2, v2, v6
	v_add_lshl_u32 v1, v1, v23, 2
	s_delay_alu instid0(VALU_DEP_4) | instskip(NEXT) | instid1(VALU_DEP_3)
	v_xor_b32_e32 v0, s13, v0
	v_and_b32_e32 v2, v2, v3
	ds_load_b32 v38, v1 offset:40
	v_add_nc_u32_e32 v40, 40, v1
	; wave barrier
	v_and_b32_e32 v0, v2, v0
	s_delay_alu instid0(VALU_DEP_1) | instskip(SKIP_1) | instid1(VALU_DEP_2)
	v_mbcnt_lo_u32_b32 v39, v0, 0
	v_cmp_ne_u32_e64 s13, 0, v0
	v_cmp_eq_u32_e32 vcc_lo, 0, v39
	s_delay_alu instid0(VALU_DEP_2) | instskip(NEXT) | instid1(SALU_CYCLE_1)
	s_and_b32 s15, s13, vcc_lo
	s_and_saveexec_b32 s13, s15
	s_cbranch_execz .LBB55_10
; %bb.9:                                ;   in Loop: Header=BB55_6 Depth=2
	s_waitcnt lgkmcnt(0)
	v_bcnt_u32_b32 v0, v0, v38
	ds_store_b32 v40, v0
.LBB55_10:                              ;   in Loop: Header=BB55_6 Depth=2
	s_or_b32 exec_lo, exec_lo, s13
	; wave barrier
	s_waitcnt lgkmcnt(0)
	s_barrier
	buffer_gl0_inv
	ds_load_2addr_b64 v[4:7], v20 offset0:5 offset1:6
	ds_load_2addr_b64 v[0:3], v22 offset0:2 offset1:3
	s_waitcnt lgkmcnt(1)
	v_add_nc_u32_e32 v41, v5, v4
	s_delay_alu instid0(VALU_DEP_1) | instskip(SKIP_1) | instid1(VALU_DEP_1)
	v_add3_u32 v41, v41, v6, v7
	s_waitcnt lgkmcnt(0)
	v_add3_u32 v41, v41, v0, v1
	s_delay_alu instid0(VALU_DEP_1) | instskip(NEXT) | instid1(VALU_DEP_1)
	v_add3_u32 v3, v41, v2, v3
	v_mov_b32_dpp v41, v3 row_shr:1 row_mask:0xf bank_mask:0xf
	s_delay_alu instid0(VALU_DEP_1) | instskip(NEXT) | instid1(VALU_DEP_1)
	v_cndmask_b32_e64 v41, v41, 0, s2
	v_add_nc_u32_e32 v3, v41, v3
	s_delay_alu instid0(VALU_DEP_1) | instskip(NEXT) | instid1(VALU_DEP_1)
	v_mov_b32_dpp v41, v3 row_shr:2 row_mask:0xf bank_mask:0xf
	v_cndmask_b32_e64 v41, 0, v41, s3
	s_delay_alu instid0(VALU_DEP_1) | instskip(NEXT) | instid1(VALU_DEP_1)
	v_add_nc_u32_e32 v3, v3, v41
	v_mov_b32_dpp v41, v3 row_shr:4 row_mask:0xf bank_mask:0xf
	s_delay_alu instid0(VALU_DEP_1) | instskip(NEXT) | instid1(VALU_DEP_1)
	v_cndmask_b32_e64 v41, 0, v41, s4
	v_add_nc_u32_e32 v3, v3, v41
	s_delay_alu instid0(VALU_DEP_1) | instskip(NEXT) | instid1(VALU_DEP_1)
	v_mov_b32_dpp v41, v3 row_shr:8 row_mask:0xf bank_mask:0xf
	v_cndmask_b32_e64 v41, 0, v41, s5
	s_delay_alu instid0(VALU_DEP_1) | instskip(SKIP_3) | instid1(VALU_DEP_1)
	v_add_nc_u32_e32 v3, v3, v41
	ds_swizzle_b32 v41, v3 offset:swizzle(BROADCAST,32,15)
	s_waitcnt lgkmcnt(0)
	v_cndmask_b32_e64 v41, v41, 0, s6
	v_add_nc_u32_e32 v3, v3, v41
	s_and_saveexec_b32 s13, s7
	s_cbranch_execz .LBB55_12
; %bb.11:                               ;   in Loop: Header=BB55_6 Depth=2
	ds_store_b32 v28, v3
.LBB55_12:                              ;   in Loop: Header=BB55_6 Depth=2
	s_or_b32 exec_lo, exec_lo, s13
	s_waitcnt lgkmcnt(0)
	s_barrier
	buffer_gl0_inv
	s_and_saveexec_b32 s13, s8
	s_cbranch_execz .LBB55_14
; %bb.13:                               ;   in Loop: Header=BB55_6 Depth=2
	ds_load_b32 v41, v25
	s_waitcnt lgkmcnt(0)
	v_mov_b32_dpp v42, v41 row_shr:1 row_mask:0xf bank_mask:0xf
	s_delay_alu instid0(VALU_DEP_1) | instskip(NEXT) | instid1(VALU_DEP_1)
	v_cndmask_b32_e64 v42, v42, 0, s2
	v_add_nc_u32_e32 v41, v42, v41
	s_delay_alu instid0(VALU_DEP_1) | instskip(NEXT) | instid1(VALU_DEP_1)
	v_mov_b32_dpp v42, v41 row_shr:2 row_mask:0xf bank_mask:0xf
	v_cndmask_b32_e64 v42, 0, v42, s3
	s_delay_alu instid0(VALU_DEP_1) | instskip(NEXT) | instid1(VALU_DEP_1)
	v_add_nc_u32_e32 v41, v41, v42
	v_mov_b32_dpp v42, v41 row_shr:4 row_mask:0xf bank_mask:0xf
	s_delay_alu instid0(VALU_DEP_1) | instskip(NEXT) | instid1(VALU_DEP_1)
	v_cndmask_b32_e64 v42, 0, v42, s4
	v_add_nc_u32_e32 v41, v41, v42
	s_delay_alu instid0(VALU_DEP_1) | instskip(NEXT) | instid1(VALU_DEP_1)
	v_mov_b32_dpp v42, v41 row_shr:8 row_mask:0xf bank_mask:0xf
	v_cndmask_b32_e64 v42, 0, v42, s5
	s_delay_alu instid0(VALU_DEP_1)
	v_add_nc_u32_e32 v41, v41, v42
	ds_store_b32 v25, v41
.LBB55_14:                              ;   in Loop: Header=BB55_6 Depth=2
	s_or_b32 exec_lo, exec_lo, s13
	v_mov_b32_e32 v41, 0
	s_waitcnt lgkmcnt(0)
	s_barrier
	buffer_gl0_inv
	s_and_saveexec_b32 s13, s9
	s_cbranch_execz .LBB55_16
; %bb.15:                               ;   in Loop: Header=BB55_6 Depth=2
	ds_load_b32 v41, v30
.LBB55_16:                              ;   in Loop: Header=BB55_6 Depth=2
	s_or_b32 exec_lo, exec_lo, s13
	s_waitcnt lgkmcnt(0)
	v_add_nc_u32_e32 v3, v41, v3
	s_cmp_gt_u32 s16, 55
	ds_bpermute_b32 v3, v24, v3
	s_waitcnt lgkmcnt(0)
	v_cndmask_b32_e64 v3, v3, v41, s10
	s_delay_alu instid0(VALU_DEP_1) | instskip(NEXT) | instid1(VALU_DEP_1)
	v_cndmask_b32_e64 v3, v3, 0, s11
	v_add_nc_u32_e32 v4, v3, v4
	s_delay_alu instid0(VALU_DEP_1) | instskip(NEXT) | instid1(VALU_DEP_1)
	v_add_nc_u32_e32 v5, v4, v5
	v_add_nc_u32_e32 v6, v5, v6
	s_delay_alu instid0(VALU_DEP_1) | instskip(NEXT) | instid1(VALU_DEP_1)
	v_add_nc_u32_e32 v41, v6, v7
	;; [unrolled: 3-line block ×3, first 2 shown]
	v_add_nc_u32_e32 v1, v0, v2
	ds_store_2addr_b64 v20, v[3:4], v[5:6] offset0:5 offset1:6
	ds_store_2addr_b64 v22, v[41:42], v[0:1] offset0:2 offset1:3
	s_waitcnt lgkmcnt(0)
	s_barrier
	buffer_gl0_inv
	ds_load_b32 v0, v37
	ds_load_b32 v1, v40
	s_waitcnt lgkmcnt(1)
	v_add_nc_u32_e32 v5, v0, v10
	s_waitcnt lgkmcnt(0)
	v_add3_u32 v4, v39, v38, v1
	s_cbranch_scc0 .LBB55_5
; %bb.17:                               ;   in Loop: Header=BB55_2 Depth=1
                                        ; implicit-def: $vgpr0_vgpr1
                                        ; implicit-def: $sgpr16_sgpr17
.LBB55_18:                              ;   in Loop: Header=BB55_2 Depth=1
	s_delay_alu instid0(VALU_DEP_2) | instskip(NEXT) | instid1(VALU_DEP_2)
	v_lshlrev_b32_e32 v0, 3, v5
	v_lshlrev_b32_e32 v1, 3, v4
	s_barrier
	buffer_gl0_inv
	ds_store_b64 v0, v[15:16]
	ds_store_b64 v1, v[17:18]
	s_waitcnt lgkmcnt(0)
	s_barrier
	buffer_gl0_inv
	ds_load_2addr_b64 v[1:4], v29 offset1:1
	s_waitcnt lgkmcnt(0)
	s_barrier
	buffer_gl0_inv
	s_and_saveexec_b32 s13, s0
	s_cbranch_execz .LBB55_20
; %bb.19:                               ;   in Loop: Header=BB55_2 Depth=1
	ds_store_2addr_stride64_b32 v36, v35, v35 offset0:20 offset1:25
.LBB55_20:                              ;   in Loop: Header=BB55_2 Depth=1
	s_or_b32 exec_lo, exec_lo, s13
	v_lshlrev_b32_e32 v0, 2, v1
	s_mov_b32 s13, exec_lo
	s_waitcnt lgkmcnt(0)
	s_barrier
	buffer_gl0_inv
	ds_store_b64 v31, v[3:4]
	v_cmpx_ne_u32_e64 v1, v3
	s_cbranch_execz .LBB55_22
; %bb.21:                               ;   in Loop: Header=BB55_2 Depth=1
	v_lshlrev_b32_e32 v5, 2, v3
	ds_store_b32 v5, v33 offset:5120
	ds_store_b32 v0, v33 offset:6400
.LBB55_22:                              ;   in Loop: Header=BB55_2 Depth=1
	s_or_b32 exec_lo, exec_lo, s13
	s_waitcnt lgkmcnt(0)
	s_barrier
	buffer_gl0_inv
	s_and_saveexec_b32 s13, s12
	s_cbranch_execz .LBB55_25
; %bb.23:                               ;   in Loop: Header=BB55_2 Depth=1
	ds_load_b32 v5, v34
	s_waitcnt lgkmcnt(0)
	v_cmp_ne_u32_e32 vcc_lo, v5, v1
	s_and_b32 exec_lo, exec_lo, vcc_lo
	s_cbranch_execz .LBB55_25
; %bb.24:                               ;   in Loop: Header=BB55_2 Depth=1
	ds_store_b32 v0, v26 offset:5120
	ds_load_b32 v5, v34
	s_waitcnt lgkmcnt(0)
	v_lshlrev_b32_e32 v5, 2, v5
	ds_store_b32 v5, v26 offset:6400
.LBB55_25:                              ;   in Loop: Header=BB55_2 Depth=1
	s_or_b32 exec_lo, exec_lo, s13
	s_waitcnt lgkmcnt(0)
	s_barrier
	buffer_gl0_inv
	s_and_saveexec_b32 s13, s11
	s_cbranch_execz .LBB55_27
; %bb.26:                               ;   in Loop: Header=BB55_2 Depth=1
	ds_store_b32 v0, v9 offset:5120
.LBB55_27:                              ;   in Loop: Header=BB55_2 Depth=1
	s_or_b32 exec_lo, exec_lo, s13
	s_waitcnt lgkmcnt(0)
	s_barrier
	buffer_gl0_inv
	s_and_saveexec_b32 s13, s0
	s_cbranch_execz .LBB55_1
; %bb.28:                               ;   in Loop: Header=BB55_2 Depth=1
	ds_load_2addr_stride64_b32 v[5:6], v36 offset0:20 offset1:25
	ds_load_b64 v[15:16], v27
	s_waitcnt lgkmcnt(1)
	v_sub_nc_u32_e32 v0, v6, v5
	s_waitcnt lgkmcnt(0)
	s_delay_alu instid0(VALU_DEP_1)
	v_add_co_u32 v5, vcc_lo, v15, v0
	v_add_co_ci_u32_e32 v6, vcc_lo, 0, v16, vcc_lo
	ds_store_b64 v27, v[5:6]
	s_branch .LBB55_1
.LBB55_29:
	s_and_saveexec_b32 s1, s0
	s_cbranch_execz .LBB55_31
; %bb.30:
	ds_load_b64 v[0:1], v27
	v_mov_b32_e32 v9, 0
	s_delay_alu instid0(VALU_DEP_1) | instskip(NEXT) | instid1(VALU_DEP_1)
	v_lshlrev_b64 v[2:3], 3, v[8:9]
	v_add_co_u32 v2, vcc_lo, s18, v2
	s_delay_alu instid0(VALU_DEP_2)
	v_add_co_ci_u32_e32 v3, vcc_lo, s19, v3, vcc_lo
	s_waitcnt lgkmcnt(0)
	global_store_b64 v[2:3], v[0:1], off
.LBB55_31:
	s_nop 0
	s_sendmsg sendmsg(MSG_DEALLOC_VGPRS)
	s_endpgm
	.section	.rodata,"a",@progbits
	.p2align	6, 0x0
	.amdhsa_kernel _Z6kernelI9histogramILN6hipcub23BlockHistogramAlgorithmE1EEyLj320ELj2ELj320ELj100EEvPKT0_PS4_
		.amdhsa_group_segment_fixed_size 12848
		.amdhsa_private_segment_fixed_size 0
		.amdhsa_kernarg_size 272
		.amdhsa_user_sgpr_count 15
		.amdhsa_user_sgpr_dispatch_ptr 0
		.amdhsa_user_sgpr_queue_ptr 0
		.amdhsa_user_sgpr_kernarg_segment_ptr 1
		.amdhsa_user_sgpr_dispatch_id 0
		.amdhsa_user_sgpr_private_segment_size 0
		.amdhsa_wavefront_size32 1
		.amdhsa_uses_dynamic_stack 0
		.amdhsa_enable_private_segment 0
		.amdhsa_system_sgpr_workgroup_id_x 1
		.amdhsa_system_sgpr_workgroup_id_y 0
		.amdhsa_system_sgpr_workgroup_id_z 0
		.amdhsa_system_sgpr_workgroup_info 0
		.amdhsa_system_vgpr_workitem_id 2
		.amdhsa_next_free_vgpr 43
		.amdhsa_next_free_sgpr 20
		.amdhsa_reserve_vcc 1
		.amdhsa_float_round_mode_32 0
		.amdhsa_float_round_mode_16_64 0
		.amdhsa_float_denorm_mode_32 3
		.amdhsa_float_denorm_mode_16_64 3
		.amdhsa_dx10_clamp 1
		.amdhsa_ieee_mode 1
		.amdhsa_fp16_overflow 0
		.amdhsa_workgroup_processor_mode 1
		.amdhsa_memory_ordered 1
		.amdhsa_forward_progress 0
		.amdhsa_shared_vgpr_count 0
		.amdhsa_exception_fp_ieee_invalid_op 0
		.amdhsa_exception_fp_denorm_src 0
		.amdhsa_exception_fp_ieee_div_zero 0
		.amdhsa_exception_fp_ieee_overflow 0
		.amdhsa_exception_fp_ieee_underflow 0
		.amdhsa_exception_fp_ieee_inexact 0
		.amdhsa_exception_int_div_zero 0
	.end_amdhsa_kernel
	.section	.text._Z6kernelI9histogramILN6hipcub23BlockHistogramAlgorithmE1EEyLj320ELj2ELj320ELj100EEvPKT0_PS4_,"axG",@progbits,_Z6kernelI9histogramILN6hipcub23BlockHistogramAlgorithmE1EEyLj320ELj2ELj320ELj100EEvPKT0_PS4_,comdat
.Lfunc_end55:
	.size	_Z6kernelI9histogramILN6hipcub23BlockHistogramAlgorithmE1EEyLj320ELj2ELj320ELj100EEvPKT0_PS4_, .Lfunc_end55-_Z6kernelI9histogramILN6hipcub23BlockHistogramAlgorithmE1EEyLj320ELj2ELj320ELj100EEvPKT0_PS4_
                                        ; -- End function
	.section	.AMDGPU.csdata,"",@progbits
; Kernel info:
; codeLenInByte = 2432
; NumSgprs: 22
; NumVgprs: 43
; ScratchSize: 0
; MemoryBound: 0
; FloatMode: 240
; IeeeMode: 1
; LDSByteSize: 12848 bytes/workgroup (compile time only)
; SGPRBlocks: 2
; VGPRBlocks: 5
; NumSGPRsForWavesPerEU: 22
; NumVGPRsForWavesPerEU: 43
; Occupancy: 15
; WaveLimiterHint : 0
; COMPUTE_PGM_RSRC2:SCRATCH_EN: 0
; COMPUTE_PGM_RSRC2:USER_SGPR: 15
; COMPUTE_PGM_RSRC2:TRAP_HANDLER: 0
; COMPUTE_PGM_RSRC2:TGID_X_EN: 1
; COMPUTE_PGM_RSRC2:TGID_Y_EN: 0
; COMPUTE_PGM_RSRC2:TGID_Z_EN: 0
; COMPUTE_PGM_RSRC2:TIDIG_COMP_CNT: 2
	.section	.text._Z6kernelI9histogramILN6hipcub23BlockHistogramAlgorithmE1EEyLj320ELj3ELj320ELj100EEvPKT0_PS4_,"axG",@progbits,_Z6kernelI9histogramILN6hipcub23BlockHistogramAlgorithmE1EEyLj320ELj3ELj320ELj100EEvPKT0_PS4_,comdat
	.protected	_Z6kernelI9histogramILN6hipcub23BlockHistogramAlgorithmE1EEyLj320ELj3ELj320ELj100EEvPKT0_PS4_ ; -- Begin function _Z6kernelI9histogramILN6hipcub23BlockHistogramAlgorithmE1EEyLj320ELj3ELj320ELj100EEvPKT0_PS4_
	.globl	_Z6kernelI9histogramILN6hipcub23BlockHistogramAlgorithmE1EEyLj320ELj3ELj320ELj100EEvPKT0_PS4_
	.p2align	8
	.type	_Z6kernelI9histogramILN6hipcub23BlockHistogramAlgorithmE1EEyLj320ELj3ELj320ELj100EEvPKT0_PS4_,@function
_Z6kernelI9histogramILN6hipcub23BlockHistogramAlgorithmE1EEyLj320ELj3ELj320ELj100EEvPKT0_PS4_: ; @_Z6kernelI9histogramILN6hipcub23BlockHistogramAlgorithmE1EEyLj320ELj3ELj320ELj100EEvPKT0_PS4_
; %bb.0:
	v_and_b32_e32 v7, 0x3ff, v0
	v_bfe_u32 v10, v0, 10, 10
	v_bfe_u32 v0, v0, 20, 10
	v_mbcnt_lo_u32_b32 v14, -1, 0
	s_mov_b32 s16, 0
	v_mad_u64_u32 v[8:9], null, 0x140, s15, v[7:8]
	s_clause 0x1
	s_load_b128 s[12:15], s[0:1], 0x0
	s_load_b32 s1, s[0:1], 0x1c
	v_mov_b32_e32 v9, 0
	s_mov_b32 s17, s16
	v_cmp_eq_u32_e64 s9, 0, v14
	v_mov_b32_e32 v38, 0x3c0
	v_lshl_add_u32 v1, v8, 1, v8
	v_mov_b32_e32 v2, v9
	v_lshrrev_b32_e32 v12, 5, v7
	v_lshlrev_b32_e32 v21, 5, v7
	v_cmp_gt_u32_e64 s0, 0x140, v7
	v_cmp_gt_u32_e64 s7, 10, v7
	v_cmp_lt_u32_e64 s8, 31, v7
	v_mul_u32_u24_e32 v13, 0x60, v12
	v_lshlrev_b32_e32 v28, 2, v12
	v_cmp_eq_u32_e64 s10, 0, v7
	v_cmp_ne_u32_e64 s11, 0, v7
	v_mul_u32_u24_e32 v33, 3, v7
	v_mad_u32_u24 v35, v7, 3, 1
	v_add_nc_u32_e32 v31, -4, v28
	v_mad_u32_u24 v36, v7, 3, 2
	s_waitcnt lgkmcnt(0)
	s_lshr_b32 s2, s1, 16
	s_and_b32 s1, s1, 0xffff
	v_mad_u32_u24 v0, v0, s2, v10
	v_lshl_add_u32 v29, v7, 3, 0x2830
	v_add_nc_u32_e32 v3, 1, v1
	v_add_nc_u32_e32 v5, 2, v1
	v_lshlrev_b64 v[1:2], 3, v[1:2]
	v_mad_u64_u32 v[10:11], null, v0, s1, v[7:8]
	v_and_b32_e32 v11, 15, v14
	v_or_b32_e32 v0, v14, v13
	s_delay_alu instid0(VALU_DEP_4) | instskip(NEXT) | instid1(VALU_DEP_3)
	v_add_co_u32 v1, vcc_lo, s12, v1
	v_cmp_eq_u32_e64 s1, 0, v11
	v_lshrrev_b32_e32 v25, 5, v10
	v_cmp_lt_u32_e64 s2, 1, v11
	v_add_nc_u32_e32 v10, -1, v14
	v_cmp_lt_u32_e64 s3, 3, v11
	v_cmp_lt_u32_e64 s4, 7, v11
	v_dual_mov_b32 v11, s16 :: v_dual_mov_b32 v12, s17
	v_add_nc_u32_e32 v24, 40, v21
	v_mov_b32_e32 v4, v9
	v_mov_b32_e32 v6, v9
	v_add_co_ci_u32_e32 v2, vcc_lo, s13, v2, vcc_lo
	v_lshlrev_b32_e32 v23, 3, v0
	s_delay_alu instid0(VALU_DEP_4) | instskip(NEXT) | instid1(VALU_DEP_4)
	v_lshlrev_b64 v[3:4], 3, v[3:4]
	v_lshlrev_b64 v[5:6], 3, v[5:6]
	v_mad_i32_i24 v27, 0xffffffe4, v7, v21
	s_delay_alu instid0(VALU_DEP_3) | instskip(NEXT) | instid1(VALU_DEP_4)
	v_add_co_u32 v3, vcc_lo, s12, v3
	v_add_co_ci_u32_e32 v4, vcc_lo, s13, v4, vcc_lo
	s_delay_alu instid0(VALU_DEP_4)
	v_add_co_u32 v5, vcc_lo, s12, v5
	v_add_co_ci_u32_e32 v6, vcc_lo, s13, v6, vcc_lo
	s_clause 0x2
	global_load_b64 v[1:2], v[1:2], off
	global_load_b64 v[3:4], v[3:4], off
	;; [unrolled: 1-line block ×3, first 2 shown]
	v_cmp_gt_i32_e32 vcc_lo, 0, v10
	v_lshlrev_b32_e32 v15, 3, v13
	v_and_b32_e32 v13, 0x1e0, v7
	v_mad_u32_u24 v30, v7, 20, v27
	s_mov_b32 s12, s16
	v_cndmask_b32_e32 v10, v10, v14, vcc_lo
	s_mov_b32 s13, s16
	v_min_u32_e32 v0, 0x120, v13
	v_mad_u32_u24 v22, v14, 24, v15
	v_and_b32_e32 v15, 16, v14
	v_lshlrev_b32_e32 v26, 2, v10
	v_lshlrev_b32_e32 v10, 4, v7
	v_or_b32_e32 v0, 31, v0
	s_delay_alu instid0(VALU_DEP_4) | instskip(NEXT) | instid1(VALU_DEP_3)
	v_cmp_eq_u32_e64 s5, 0, v15
	v_sub_nc_u32_e32 v34, v30, v10
	s_delay_alu instid0(VALU_DEP_3) | instskip(SKIP_1) | instid1(VALU_DEP_3)
	v_cmp_eq_u32_e64 s6, v0, v7
	v_mul_u32_u24_e32 v0, 3, v13
	v_add_nc_u32_e32 v37, -8, v34
	s_delay_alu instid0(VALU_DEP_2) | instskip(SKIP_1) | instid1(VALU_DEP_2)
	v_or_b32_e32 v0, v14, v0
	v_dual_mov_b32 v14, s13 :: v_dual_mov_b32 v13, s12
	v_lshlrev_b32_e32 v32, 3, v0
	v_lshlrev_b32_e32 v0, 2, v7
	s_delay_alu instid0(VALU_DEP_1) | instskip(NEXT) | instid1(VALU_DEP_1)
	v_sub_nc_u32_e32 v0, 0, v0
	v_add_nc_u32_e32 v39, v34, v0
	s_branch .LBB56_2
.LBB56_1:                               ;   in Loop: Header=BB56_2 Depth=1
	s_or_b32 exec_lo, exec_lo, s12
	s_add_i32 s16, s16, 1
	s_delay_alu instid0(SALU_CYCLE_1)
	s_cmpk_lg_i32 s16, 0x64
	s_cbranch_scc0 .LBB56_33
.LBB56_2:                               ; =>This Loop Header: Depth=1
                                        ;     Child Loop BB56_6 Depth 2
	s_and_saveexec_b32 s12, s0
	s_cbranch_execz .LBB56_4
; %bb.3:                                ;   in Loop: Header=BB56_2 Depth=1
	v_mov_b32_e32 v10, v9
	ds_store_b64 v29, v[9:10]
.LBB56_4:                               ;   in Loop: Header=BB56_2 Depth=1
	s_or_b32 exec_lo, exec_lo, s12
	s_waitcnt vmcnt(0) lgkmcnt(0)
	s_barrier
	buffer_gl0_inv
	ds_store_2addr_b64 v22, v[1:2], v[3:4] offset1:1
	ds_store_b64 v22, v[5:6] offset:16
	; wave barrier
	ds_load_2addr_b64 v[0:3], v23 offset1:32
	ds_load_b64 v[4:5], v23 offset:512
	s_mov_b64 s[18:19], 0
	s_waitcnt lgkmcnt(0)
	s_barrier
	buffer_gl0_inv
	; wave barrier
	s_barrier
	s_branch .LBB56_6
.LBB56_5:                               ;   in Loop: Header=BB56_6 Depth=2
	v_lshlrev_b32_e32 v0, 3, v10
	v_lshlrev_b32_e32 v1, 3, v7
	s_delay_alu instid0(VALU_DEP_3)
	v_lshlrev_b32_e32 v2, 3, v6
	s_barrier
	buffer_gl0_inv
	ds_store_b64 v0, v[15:16]
	ds_store_b64 v1, v[19:20]
	;; [unrolled: 1-line block ×3, first 2 shown]
	s_waitcnt lgkmcnt(0)
	s_barrier
	buffer_gl0_inv
	ds_load_2addr_b64 v[0:3], v32 offset1:32
	ds_load_b64 v[4:5], v32 offset:512
	s_add_u32 s18, s18, 8
	s_addc_u32 s19, s19, 0
	s_waitcnt lgkmcnt(0)
	s_barrier
	s_cbranch_execz .LBB56_20
.LBB56_6:                               ;   Parent Loop BB56_2 Depth=1
                                        ; =>  This Inner Loop Header: Depth=2
	v_dual_mov_b32 v16, v1 :: v_dual_mov_b32 v15, v0
	buffer_gl0_inv
	ds_store_2addr_b64 v21, v[11:12], v[13:14] offset0:5 offset1:6
	ds_store_2addr_b64 v24, v[11:12], v[13:14] offset0:2 offset1:3
	s_waitcnt lgkmcnt(0)
	s_barrier
	v_lshrrev_b64 v[6:7], s18, v[15:16]
	buffer_gl0_inv
	; wave barrier
	v_and_b32_e32 v0, 1, v6
	v_lshlrev_b32_e32 v1, 30, v6
	v_lshlrev_b32_e32 v7, 29, v6
	;; [unrolled: 1-line block ×4, first 2 shown]
	v_add_co_u32 v0, s12, v0, -1
	s_delay_alu instid0(VALU_DEP_1)
	v_cndmask_b32_e64 v17, 0, 1, s12
	v_not_b32_e32 v40, v1
	v_cmp_gt_i32_e64 s12, 0, v1
	v_not_b32_e32 v1, v7
	v_lshlrev_b32_e32 v19, 26, v6
	v_cmp_ne_u32_e32 vcc_lo, 0, v17
	v_ashrrev_i32_e32 v40, 31, v40
	v_lshlrev_b32_e32 v20, 25, v6
	v_ashrrev_i32_e32 v1, 31, v1
	v_lshlrev_b32_e32 v17, 24, v6
	v_xor_b32_e32 v0, vcc_lo, v0
	v_cmp_gt_i32_e32 vcc_lo, 0, v7
	v_not_b32_e32 v7, v10
	v_xor_b32_e32 v40, s12, v40
	v_cmp_gt_i32_e64 s12, 0, v10
	v_and_b32_e32 v0, exec_lo, v0
	v_not_b32_e32 v10, v18
	v_ashrrev_i32_e32 v7, 31, v7
	v_xor_b32_e32 v1, vcc_lo, v1
	v_cmp_gt_i32_e32 vcc_lo, 0, v18
	v_and_b32_e32 v0, v0, v40
	v_not_b32_e32 v18, v19
	v_ashrrev_i32_e32 v10, 31, v10
	v_xor_b32_e32 v7, s12, v7
	v_cmp_gt_i32_e64 s12, 0, v19
	v_and_b32_e32 v0, v0, v1
	v_not_b32_e32 v1, v20
	v_ashrrev_i32_e32 v18, 31, v18
	v_xor_b32_e32 v10, vcc_lo, v10
	v_cmp_gt_i32_e32 vcc_lo, 0, v20
	v_and_b32_e32 v0, v0, v7
	v_not_b32_e32 v7, v17
	v_ashrrev_i32_e32 v1, 31, v1
	v_xor_b32_e32 v18, s12, v18
	v_cmp_gt_i32_e64 s12, 0, v17
	v_and_b32_e32 v0, v0, v10
	v_ashrrev_i32_e32 v7, 31, v7
	v_xor_b32_e32 v1, vcc_lo, v1
	v_dual_mov_b32 v20, v3 :: v_dual_mov_b32 v19, v2
	s_delay_alu instid0(VALU_DEP_4) | instskip(NEXT) | instid1(VALU_DEP_4)
	v_and_b32_e32 v0, v0, v18
	v_xor_b32_e32 v7, s12, v7
	v_dual_mov_b32 v18, v5 :: v_dual_mov_b32 v17, v4
	s_delay_alu instid0(VALU_DEP_3) | instskip(SKIP_1) | instid1(VALU_DEP_2)
	v_and_b32_e32 v0, v0, v1
	v_and_b32_e32 v1, 0xff, v6
	;; [unrolled: 1-line block ×3, first 2 shown]
	s_delay_alu instid0(VALU_DEP_2) | instskip(NEXT) | instid1(VALU_DEP_2)
	v_mad_u32_u24 v1, v1, 10, v25
	v_mbcnt_lo_u32_b32 v10, v0, 0
	v_cmp_ne_u32_e64 s12, 0, v0
	s_delay_alu instid0(VALU_DEP_3) | instskip(NEXT) | instid1(VALU_DEP_3)
	v_lshl_add_u32 v40, v1, 2, 40
	v_cmp_eq_u32_e32 vcc_lo, 0, v10
	s_delay_alu instid0(VALU_DEP_3) | instskip(NEXT) | instid1(SALU_CYCLE_1)
	s_and_b32 s13, s12, vcc_lo
	s_and_saveexec_b32 s12, s13
	s_cbranch_execz .LBB56_8
; %bb.7:                                ;   in Loop: Header=BB56_6 Depth=2
	v_bcnt_u32_b32 v0, v0, 0
	ds_store_b32 v40, v0
.LBB56_8:                               ;   in Loop: Header=BB56_6 Depth=2
	s_or_b32 exec_lo, exec_lo, s12
	v_lshrrev_b64 v[0:1], s18, v[19:20]
	; wave barrier
	s_delay_alu instid0(VALU_DEP_1)
	v_and_b32_e32 v2, 1, v0
	v_lshlrev_b32_e32 v3, 30, v0
	v_lshlrev_b32_e32 v4, 29, v0
	;; [unrolled: 1-line block ×4, first 2 shown]
	v_add_co_u32 v2, s12, v2, -1
	s_delay_alu instid0(VALU_DEP_1)
	v_cndmask_b32_e64 v6, 0, 1, s12
	v_not_b32_e32 v43, v3
	v_cmp_gt_i32_e64 s12, 0, v3
	v_not_b32_e32 v3, v4
	v_lshlrev_b32_e32 v41, 26, v0
	v_cmp_ne_u32_e32 vcc_lo, 0, v6
	v_ashrrev_i32_e32 v6, 31, v43
	v_lshlrev_b32_e32 v42, 25, v0
	v_ashrrev_i32_e32 v3, 31, v3
	v_and_b32_e32 v1, 0xff, v0
	v_xor_b32_e32 v2, vcc_lo, v2
	v_cmp_gt_i32_e32 vcc_lo, 0, v4
	v_not_b32_e32 v4, v5
	v_xor_b32_e32 v6, s12, v6
	v_cmp_gt_i32_e64 s12, 0, v5
	v_and_b32_e32 v2, exec_lo, v2
	v_not_b32_e32 v5, v7
	v_ashrrev_i32_e32 v4, 31, v4
	v_xor_b32_e32 v3, vcc_lo, v3
	v_cmp_gt_i32_e32 vcc_lo, 0, v7
	v_and_b32_e32 v2, v2, v6
	v_not_b32_e32 v6, v41
	v_ashrrev_i32_e32 v5, 31, v5
	v_xor_b32_e32 v4, s12, v4
	v_lshlrev_b32_e32 v0, 24, v0
	v_and_b32_e32 v2, v2, v3
	v_cmp_gt_i32_e64 s12, 0, v41
	v_not_b32_e32 v3, v42
	v_ashrrev_i32_e32 v6, 31, v6
	v_xor_b32_e32 v5, vcc_lo, v5
	v_and_b32_e32 v2, v2, v4
	v_cmp_gt_i32_e32 vcc_lo, 0, v42
	v_not_b32_e32 v4, v0
	v_ashrrev_i32_e32 v3, 31, v3
	v_xor_b32_e32 v6, s12, v6
	v_and_b32_e32 v2, v2, v5
	v_mul_u32_u24_e32 v1, 10, v1
	v_cmp_gt_i32_e64 s12, 0, v0
	v_ashrrev_i32_e32 v0, 31, v4
	v_xor_b32_e32 v3, vcc_lo, v3
	v_and_b32_e32 v2, v2, v6
	v_add_lshl_u32 v1, v1, v25, 2
	s_delay_alu instid0(VALU_DEP_4) | instskip(NEXT) | instid1(VALU_DEP_3)
	v_xor_b32_e32 v0, s12, v0
	v_and_b32_e32 v2, v2, v3
	ds_load_b32 v41, v1 offset:40
	v_add_nc_u32_e32 v43, 40, v1
	; wave barrier
	v_and_b32_e32 v0, v2, v0
	s_delay_alu instid0(VALU_DEP_1) | instskip(SKIP_1) | instid1(VALU_DEP_2)
	v_mbcnt_lo_u32_b32 v42, v0, 0
	v_cmp_ne_u32_e64 s12, 0, v0
	v_cmp_eq_u32_e32 vcc_lo, 0, v42
	s_delay_alu instid0(VALU_DEP_2) | instskip(NEXT) | instid1(SALU_CYCLE_1)
	s_and_b32 s13, s12, vcc_lo
	s_and_saveexec_b32 s12, s13
	s_cbranch_execz .LBB56_10
; %bb.9:                                ;   in Loop: Header=BB56_6 Depth=2
	s_waitcnt lgkmcnt(0)
	v_bcnt_u32_b32 v0, v0, v41
	ds_store_b32 v43, v0
.LBB56_10:                              ;   in Loop: Header=BB56_6 Depth=2
	s_or_b32 exec_lo, exec_lo, s12
	v_lshrrev_b64 v[0:1], s18, v[17:18]
	; wave barrier
	s_delay_alu instid0(VALU_DEP_1)
	v_and_b32_e32 v2, 1, v0
	v_lshlrev_b32_e32 v3, 30, v0
	v_lshlrev_b32_e32 v4, 29, v0
	;; [unrolled: 1-line block ×4, first 2 shown]
	v_add_co_u32 v2, s12, v2, -1
	s_delay_alu instid0(VALU_DEP_1)
	v_cndmask_b32_e64 v6, 0, 1, s12
	v_not_b32_e32 v46, v3
	v_cmp_gt_i32_e64 s12, 0, v3
	v_not_b32_e32 v3, v4
	v_lshlrev_b32_e32 v44, 26, v0
	v_cmp_ne_u32_e32 vcc_lo, 0, v6
	v_ashrrev_i32_e32 v6, 31, v46
	v_lshlrev_b32_e32 v45, 25, v0
	v_ashrrev_i32_e32 v3, 31, v3
	v_and_b32_e32 v1, 0xff, v0
	v_xor_b32_e32 v2, vcc_lo, v2
	v_cmp_gt_i32_e32 vcc_lo, 0, v4
	v_not_b32_e32 v4, v5
	v_xor_b32_e32 v6, s12, v6
	v_cmp_gt_i32_e64 s12, 0, v5
	v_and_b32_e32 v2, exec_lo, v2
	v_not_b32_e32 v5, v7
	v_ashrrev_i32_e32 v4, 31, v4
	v_xor_b32_e32 v3, vcc_lo, v3
	v_cmp_gt_i32_e32 vcc_lo, 0, v7
	v_and_b32_e32 v2, v2, v6
	v_not_b32_e32 v6, v44
	v_ashrrev_i32_e32 v5, 31, v5
	v_xor_b32_e32 v4, s12, v4
	v_lshlrev_b32_e32 v0, 24, v0
	v_and_b32_e32 v2, v2, v3
	v_cmp_gt_i32_e64 s12, 0, v44
	v_not_b32_e32 v3, v45
	v_ashrrev_i32_e32 v6, 31, v6
	v_xor_b32_e32 v5, vcc_lo, v5
	v_and_b32_e32 v2, v2, v4
	v_cmp_gt_i32_e32 vcc_lo, 0, v45
	v_not_b32_e32 v4, v0
	v_ashrrev_i32_e32 v3, 31, v3
	v_xor_b32_e32 v6, s12, v6
	v_and_b32_e32 v2, v2, v5
	v_mul_u32_u24_e32 v1, 10, v1
	v_cmp_gt_i32_e64 s12, 0, v0
	v_ashrrev_i32_e32 v0, 31, v4
	v_xor_b32_e32 v3, vcc_lo, v3
	v_and_b32_e32 v2, v2, v6
	v_add_lshl_u32 v1, v1, v25, 2
	s_delay_alu instid0(VALU_DEP_4) | instskip(NEXT) | instid1(VALU_DEP_3)
	v_xor_b32_e32 v0, s12, v0
	v_and_b32_e32 v2, v2, v3
	ds_load_b32 v44, v1 offset:40
	v_add_nc_u32_e32 v46, 40, v1
	; wave barrier
	v_and_b32_e32 v0, v2, v0
	s_delay_alu instid0(VALU_DEP_1) | instskip(SKIP_1) | instid1(VALU_DEP_2)
	v_mbcnt_lo_u32_b32 v45, v0, 0
	v_cmp_ne_u32_e64 s12, 0, v0
	v_cmp_eq_u32_e32 vcc_lo, 0, v45
	s_delay_alu instid0(VALU_DEP_2) | instskip(NEXT) | instid1(SALU_CYCLE_1)
	s_and_b32 s13, s12, vcc_lo
	s_and_saveexec_b32 s12, s13
	s_cbranch_execz .LBB56_12
; %bb.11:                               ;   in Loop: Header=BB56_6 Depth=2
	s_waitcnt lgkmcnt(0)
	v_bcnt_u32_b32 v0, v0, v44
	ds_store_b32 v46, v0
.LBB56_12:                              ;   in Loop: Header=BB56_6 Depth=2
	s_or_b32 exec_lo, exec_lo, s12
	; wave barrier
	s_waitcnt lgkmcnt(0)
	s_barrier
	buffer_gl0_inv
	ds_load_2addr_b64 v[4:7], v21 offset0:5 offset1:6
	ds_load_2addr_b64 v[0:3], v24 offset0:2 offset1:3
	s_waitcnt lgkmcnt(1)
	v_add_nc_u32_e32 v47, v5, v4
	s_delay_alu instid0(VALU_DEP_1) | instskip(SKIP_1) | instid1(VALU_DEP_1)
	v_add3_u32 v47, v47, v6, v7
	s_waitcnt lgkmcnt(0)
	v_add3_u32 v47, v47, v0, v1
	s_delay_alu instid0(VALU_DEP_1) | instskip(NEXT) | instid1(VALU_DEP_1)
	v_add3_u32 v3, v47, v2, v3
	v_mov_b32_dpp v47, v3 row_shr:1 row_mask:0xf bank_mask:0xf
	s_delay_alu instid0(VALU_DEP_1) | instskip(NEXT) | instid1(VALU_DEP_1)
	v_cndmask_b32_e64 v47, v47, 0, s1
	v_add_nc_u32_e32 v3, v47, v3
	s_delay_alu instid0(VALU_DEP_1) | instskip(NEXT) | instid1(VALU_DEP_1)
	v_mov_b32_dpp v47, v3 row_shr:2 row_mask:0xf bank_mask:0xf
	v_cndmask_b32_e64 v47, 0, v47, s2
	s_delay_alu instid0(VALU_DEP_1) | instskip(NEXT) | instid1(VALU_DEP_1)
	v_add_nc_u32_e32 v3, v3, v47
	v_mov_b32_dpp v47, v3 row_shr:4 row_mask:0xf bank_mask:0xf
	s_delay_alu instid0(VALU_DEP_1) | instskip(NEXT) | instid1(VALU_DEP_1)
	v_cndmask_b32_e64 v47, 0, v47, s3
	v_add_nc_u32_e32 v3, v3, v47
	s_delay_alu instid0(VALU_DEP_1) | instskip(NEXT) | instid1(VALU_DEP_1)
	v_mov_b32_dpp v47, v3 row_shr:8 row_mask:0xf bank_mask:0xf
	v_cndmask_b32_e64 v47, 0, v47, s4
	s_delay_alu instid0(VALU_DEP_1) | instskip(SKIP_3) | instid1(VALU_DEP_1)
	v_add_nc_u32_e32 v3, v3, v47
	ds_swizzle_b32 v47, v3 offset:swizzle(BROADCAST,32,15)
	s_waitcnt lgkmcnt(0)
	v_cndmask_b32_e64 v47, v47, 0, s5
	v_add_nc_u32_e32 v3, v3, v47
	s_and_saveexec_b32 s12, s6
	s_cbranch_execz .LBB56_14
; %bb.13:                               ;   in Loop: Header=BB56_6 Depth=2
	ds_store_b32 v28, v3
.LBB56_14:                              ;   in Loop: Header=BB56_6 Depth=2
	s_or_b32 exec_lo, exec_lo, s12
	s_waitcnt lgkmcnt(0)
	s_barrier
	buffer_gl0_inv
	s_and_saveexec_b32 s12, s7
	s_cbranch_execz .LBB56_16
; %bb.15:                               ;   in Loop: Header=BB56_6 Depth=2
	ds_load_b32 v47, v27
	s_waitcnt lgkmcnt(0)
	v_mov_b32_dpp v48, v47 row_shr:1 row_mask:0xf bank_mask:0xf
	s_delay_alu instid0(VALU_DEP_1) | instskip(NEXT) | instid1(VALU_DEP_1)
	v_cndmask_b32_e64 v48, v48, 0, s1
	v_add_nc_u32_e32 v47, v48, v47
	s_delay_alu instid0(VALU_DEP_1) | instskip(NEXT) | instid1(VALU_DEP_1)
	v_mov_b32_dpp v48, v47 row_shr:2 row_mask:0xf bank_mask:0xf
	v_cndmask_b32_e64 v48, 0, v48, s2
	s_delay_alu instid0(VALU_DEP_1) | instskip(NEXT) | instid1(VALU_DEP_1)
	v_add_nc_u32_e32 v47, v47, v48
	v_mov_b32_dpp v48, v47 row_shr:4 row_mask:0xf bank_mask:0xf
	s_delay_alu instid0(VALU_DEP_1) | instskip(NEXT) | instid1(VALU_DEP_1)
	v_cndmask_b32_e64 v48, 0, v48, s3
	v_add_nc_u32_e32 v47, v47, v48
	s_delay_alu instid0(VALU_DEP_1) | instskip(NEXT) | instid1(VALU_DEP_1)
	v_mov_b32_dpp v48, v47 row_shr:8 row_mask:0xf bank_mask:0xf
	v_cndmask_b32_e64 v48, 0, v48, s4
	s_delay_alu instid0(VALU_DEP_1)
	v_add_nc_u32_e32 v47, v47, v48
	ds_store_b32 v27, v47
.LBB56_16:                              ;   in Loop: Header=BB56_6 Depth=2
	s_or_b32 exec_lo, exec_lo, s12
	v_mov_b32_e32 v47, 0
	s_waitcnt lgkmcnt(0)
	s_barrier
	buffer_gl0_inv
	s_and_saveexec_b32 s12, s8
	s_cbranch_execz .LBB56_18
; %bb.17:                               ;   in Loop: Header=BB56_6 Depth=2
	ds_load_b32 v47, v31
.LBB56_18:                              ;   in Loop: Header=BB56_6 Depth=2
	s_or_b32 exec_lo, exec_lo, s12
	s_waitcnt lgkmcnt(0)
	v_add_nc_u32_e32 v3, v47, v3
	s_cmp_gt_u32 s18, 55
	ds_bpermute_b32 v3, v26, v3
	s_waitcnt lgkmcnt(0)
	v_cndmask_b32_e64 v3, v3, v47, s9
	s_delay_alu instid0(VALU_DEP_1) | instskip(NEXT) | instid1(VALU_DEP_1)
	v_cndmask_b32_e64 v3, v3, 0, s10
	v_add_nc_u32_e32 v4, v3, v4
	s_delay_alu instid0(VALU_DEP_1) | instskip(NEXT) | instid1(VALU_DEP_1)
	v_add_nc_u32_e32 v5, v4, v5
	v_add_nc_u32_e32 v6, v5, v6
	s_delay_alu instid0(VALU_DEP_1) | instskip(NEXT) | instid1(VALU_DEP_1)
	v_add_nc_u32_e32 v47, v6, v7
	v_add_nc_u32_e32 v48, v47, v0
	s_delay_alu instid0(VALU_DEP_1) | instskip(NEXT) | instid1(VALU_DEP_1)
	v_add_nc_u32_e32 v0, v48, v1
	v_add_nc_u32_e32 v1, v0, v2
	ds_store_2addr_b64 v21, v[3:4], v[5:6] offset0:5 offset1:6
	ds_store_2addr_b64 v24, v[47:48], v[0:1] offset0:2 offset1:3
	s_waitcnt lgkmcnt(0)
	s_barrier
	buffer_gl0_inv
	ds_load_b32 v0, v40
	ds_load_b32 v1, v43
	;; [unrolled: 1-line block ×3, first 2 shown]
	s_waitcnt lgkmcnt(2)
	v_add_nc_u32_e32 v10, v0, v10
	s_waitcnt lgkmcnt(1)
	v_add3_u32 v7, v42, v41, v1
	s_waitcnt lgkmcnt(0)
	v_add3_u32 v6, v45, v44, v2
	s_cbranch_scc0 .LBB56_5
; %bb.19:                               ;   in Loop: Header=BB56_2 Depth=1
                                        ; implicit-def: $vgpr4_vgpr5
                                        ; implicit-def: $vgpr2_vgpr3
                                        ; implicit-def: $sgpr18_sgpr19
.LBB56_20:                              ;   in Loop: Header=BB56_2 Depth=1
	v_lshlrev_b32_e32 v0, 3, v10
	v_lshlrev_b32_e32 v1, 3, v7
	s_delay_alu instid0(VALU_DEP_3)
	v_lshlrev_b32_e32 v2, 3, v6
	s_barrier
	buffer_gl0_inv
	ds_store_b64 v0, v[15:16]
	ds_store_b64 v1, v[19:20]
	;; [unrolled: 1-line block ×3, first 2 shown]
	s_waitcnt lgkmcnt(0)
	s_barrier
	buffer_gl0_inv
	ds_load_2addr_b64 v[1:4], v30 offset1:1
	ds_load_b64 v[5:6], v30 offset:16
	s_waitcnt lgkmcnt(0)
	s_barrier
	buffer_gl0_inv
	s_and_saveexec_b32 s12, s0
	s_cbranch_execz .LBB56_22
; %bb.21:                               ;   in Loop: Header=BB56_2 Depth=1
	ds_store_2addr_stride64_b32 v39, v38, v38 offset0:20 offset1:25
.LBB56_22:                              ;   in Loop: Header=BB56_2 Depth=1
	s_or_b32 exec_lo, exec_lo, s12
	v_lshlrev_b32_e32 v7, 2, v3
	s_mov_b32 s12, exec_lo
	s_waitcnt lgkmcnt(0)
	s_barrier
	buffer_gl0_inv
	ds_store_b64 v34, v[5:6]
	v_cmpx_ne_u32_e64 v3, v5
	s_cbranch_execz .LBB56_24
; %bb.23:                               ;   in Loop: Header=BB56_2 Depth=1
	v_lshlrev_b32_e32 v0, 2, v5
	ds_store_b32 v0, v36 offset:5120
	ds_store_b32 v7, v36 offset:6400
.LBB56_24:                              ;   in Loop: Header=BB56_2 Depth=1
	s_or_b32 exec_lo, exec_lo, s12
	v_lshlrev_b32_e32 v0, 2, v1
	s_mov_b32 s12, exec_lo
	v_cmpx_ne_u32_e64 v3, v1
	s_cbranch_execz .LBB56_26
; %bb.25:                               ;   in Loop: Header=BB56_2 Depth=1
	ds_store_b32 v7, v35 offset:5120
	ds_store_b32 v0, v35 offset:6400
.LBB56_26:                              ;   in Loop: Header=BB56_2 Depth=1
	s_or_b32 exec_lo, exec_lo, s12
	s_waitcnt lgkmcnt(0)
	s_barrier
	buffer_gl0_inv
	s_and_saveexec_b32 s12, s11
	s_cbranch_execz .LBB56_29
; %bb.27:                               ;   in Loop: Header=BB56_2 Depth=1
	ds_load_b32 v7, v37
	s_waitcnt lgkmcnt(0)
	v_cmp_ne_u32_e32 vcc_lo, v7, v1
	s_and_b32 exec_lo, exec_lo, vcc_lo
	s_cbranch_execz .LBB56_29
; %bb.28:                               ;   in Loop: Header=BB56_2 Depth=1
	ds_store_b32 v0, v33 offset:5120
	ds_load_b32 v7, v37
	s_waitcnt lgkmcnt(0)
	v_lshlrev_b32_e32 v7, 2, v7
	ds_store_b32 v7, v33 offset:6400
.LBB56_29:                              ;   in Loop: Header=BB56_2 Depth=1
	s_or_b32 exec_lo, exec_lo, s12
	s_waitcnt lgkmcnt(0)
	s_barrier
	buffer_gl0_inv
	s_and_saveexec_b32 s12, s10
	s_cbranch_execz .LBB56_31
; %bb.30:                               ;   in Loop: Header=BB56_2 Depth=1
	ds_store_b32 v0, v9 offset:5120
.LBB56_31:                              ;   in Loop: Header=BB56_2 Depth=1
	s_or_b32 exec_lo, exec_lo, s12
	s_waitcnt lgkmcnt(0)
	s_barrier
	buffer_gl0_inv
	s_and_saveexec_b32 s12, s0
	s_cbranch_execz .LBB56_1
; %bb.32:                               ;   in Loop: Header=BB56_2 Depth=1
	ds_load_2addr_stride64_b32 v[15:16], v39 offset0:20 offset1:25
	ds_load_b64 v[17:18], v29
	s_waitcnt lgkmcnt(1)
	v_sub_nc_u32_e32 v0, v16, v15
	s_waitcnt lgkmcnt(0)
	s_delay_alu instid0(VALU_DEP_1)
	v_add_co_u32 v15, vcc_lo, v17, v0
	v_add_co_ci_u32_e32 v16, vcc_lo, 0, v18, vcc_lo
	ds_store_b64 v29, v[15:16]
	s_branch .LBB56_1
.LBB56_33:
	s_and_saveexec_b32 s1, s0
	s_cbranch_execz .LBB56_35
; %bb.34:
	ds_load_b64 v[0:1], v29
	v_mov_b32_e32 v9, 0
	s_delay_alu instid0(VALU_DEP_1) | instskip(NEXT) | instid1(VALU_DEP_1)
	v_lshlrev_b64 v[2:3], 3, v[8:9]
	v_add_co_u32 v2, vcc_lo, s14, v2
	s_delay_alu instid0(VALU_DEP_2)
	v_add_co_ci_u32_e32 v3, vcc_lo, s15, v3, vcc_lo
	s_waitcnt lgkmcnt(0)
	global_store_b64 v[2:3], v[0:1], off
.LBB56_35:
	s_nop 0
	s_sendmsg sendmsg(MSG_DEALLOC_VGPRS)
	s_endpgm
	.section	.rodata,"a",@progbits
	.p2align	6, 0x0
	.amdhsa_kernel _Z6kernelI9histogramILN6hipcub23BlockHistogramAlgorithmE1EEyLj320ELj3ELj320ELj100EEvPKT0_PS4_
		.amdhsa_group_segment_fixed_size 12848
		.amdhsa_private_segment_fixed_size 0
		.amdhsa_kernarg_size 272
		.amdhsa_user_sgpr_count 15
		.amdhsa_user_sgpr_dispatch_ptr 0
		.amdhsa_user_sgpr_queue_ptr 0
		.amdhsa_user_sgpr_kernarg_segment_ptr 1
		.amdhsa_user_sgpr_dispatch_id 0
		.amdhsa_user_sgpr_private_segment_size 0
		.amdhsa_wavefront_size32 1
		.amdhsa_uses_dynamic_stack 0
		.amdhsa_enable_private_segment 0
		.amdhsa_system_sgpr_workgroup_id_x 1
		.amdhsa_system_sgpr_workgroup_id_y 0
		.amdhsa_system_sgpr_workgroup_id_z 0
		.amdhsa_system_sgpr_workgroup_info 0
		.amdhsa_system_vgpr_workitem_id 2
		.amdhsa_next_free_vgpr 49
		.amdhsa_next_free_sgpr 20
		.amdhsa_reserve_vcc 1
		.amdhsa_float_round_mode_32 0
		.amdhsa_float_round_mode_16_64 0
		.amdhsa_float_denorm_mode_32 3
		.amdhsa_float_denorm_mode_16_64 3
		.amdhsa_dx10_clamp 1
		.amdhsa_ieee_mode 1
		.amdhsa_fp16_overflow 0
		.amdhsa_workgroup_processor_mode 1
		.amdhsa_memory_ordered 1
		.amdhsa_forward_progress 0
		.amdhsa_shared_vgpr_count 0
		.amdhsa_exception_fp_ieee_invalid_op 0
		.amdhsa_exception_fp_denorm_src 0
		.amdhsa_exception_fp_ieee_div_zero 0
		.amdhsa_exception_fp_ieee_overflow 0
		.amdhsa_exception_fp_ieee_underflow 0
		.amdhsa_exception_fp_ieee_inexact 0
		.amdhsa_exception_int_div_zero 0
	.end_amdhsa_kernel
	.section	.text._Z6kernelI9histogramILN6hipcub23BlockHistogramAlgorithmE1EEyLj320ELj3ELj320ELj100EEvPKT0_PS4_,"axG",@progbits,_Z6kernelI9histogramILN6hipcub23BlockHistogramAlgorithmE1EEyLj320ELj3ELj320ELj100EEvPKT0_PS4_,comdat
.Lfunc_end56:
	.size	_Z6kernelI9histogramILN6hipcub23BlockHistogramAlgorithmE1EEyLj320ELj3ELj320ELj100EEvPKT0_PS4_, .Lfunc_end56-_Z6kernelI9histogramILN6hipcub23BlockHistogramAlgorithmE1EEyLj320ELj3ELj320ELj100EEvPKT0_PS4_
                                        ; -- End function
	.section	.AMDGPU.csdata,"",@progbits
; Kernel info:
; codeLenInByte = 2944
; NumSgprs: 22
; NumVgprs: 49
; ScratchSize: 0
; MemoryBound: 0
; FloatMode: 240
; IeeeMode: 1
; LDSByteSize: 12848 bytes/workgroup (compile time only)
; SGPRBlocks: 2
; VGPRBlocks: 6
; NumSGPRsForWavesPerEU: 22
; NumVGPRsForWavesPerEU: 49
; Occupancy: 15
; WaveLimiterHint : 0
; COMPUTE_PGM_RSRC2:SCRATCH_EN: 0
; COMPUTE_PGM_RSRC2:USER_SGPR: 15
; COMPUTE_PGM_RSRC2:TRAP_HANDLER: 0
; COMPUTE_PGM_RSRC2:TGID_X_EN: 1
; COMPUTE_PGM_RSRC2:TGID_Y_EN: 0
; COMPUTE_PGM_RSRC2:TGID_Z_EN: 0
; COMPUTE_PGM_RSRC2:TIDIG_COMP_CNT: 2
	.section	.text._Z6kernelI9histogramILN6hipcub23BlockHistogramAlgorithmE1EEyLj320ELj4ELj320ELj100EEvPKT0_PS4_,"axG",@progbits,_Z6kernelI9histogramILN6hipcub23BlockHistogramAlgorithmE1EEyLj320ELj4ELj320ELj100EEvPKT0_PS4_,comdat
	.protected	_Z6kernelI9histogramILN6hipcub23BlockHistogramAlgorithmE1EEyLj320ELj4ELj320ELj100EEvPKT0_PS4_ ; -- Begin function _Z6kernelI9histogramILN6hipcub23BlockHistogramAlgorithmE1EEyLj320ELj4ELj320ELj100EEvPKT0_PS4_
	.globl	_Z6kernelI9histogramILN6hipcub23BlockHistogramAlgorithmE1EEyLj320ELj4ELj320ELj100EEvPKT0_PS4_
	.p2align	8
	.type	_Z6kernelI9histogramILN6hipcub23BlockHistogramAlgorithmE1EEyLj320ELj4ELj320ELj100EEvPKT0_PS4_,@function
_Z6kernelI9histogramILN6hipcub23BlockHistogramAlgorithmE1EEyLj320ELj4ELj320ELj100EEvPKT0_PS4_: ; @_Z6kernelI9histogramILN6hipcub23BlockHistogramAlgorithmE1EEyLj320ELj4ELj320ELj100EEvPKT0_PS4_
; %bb.0:
	v_and_b32_e32 v11, 0x3ff, v0
	s_clause 0x1
	s_load_b128 s[16:19], s[0:1], 0x0
	s_load_b32 s4, s[0:1], 0x1c
	v_mbcnt_lo_u32_b32 v14, -1, 0
	v_bfe_u32 v13, v0, 10, 10
	v_mad_u64_u32 v[9:10], null, 0x140, s15, v[11:12]
	v_mov_b32_e32 v10, 0
	v_bfe_u32 v0, v0, 20, 10
	v_add_nc_u32_e32 v15, -1, v14
	v_dual_mov_b32 v47, 0x500 :: v_dual_lshlrev_b32 v26, 5, v11
	s_delay_alu instid0(VALU_DEP_4) | instskip(SKIP_1) | instid1(VALU_DEP_3)
	v_dual_mov_b32 v2, v10 :: v_dual_lshlrev_b32 v1, 2, v9
	v_cmp_eq_u32_e64 s12, 0, v14
	v_mad_i32_i24 v34, 0xffffffe4, v11, v26
	v_and_b32_e32 v16, 0x1f8, v11
	v_cmp_gt_u32_e64 s0, 0x140, v11
	v_lshlrev_b64 v[1:2], 3, v[1:2]
	v_cmp_gt_u32_e64 s10, 10, v11
	v_cmp_lt_u32_e64 s11, 31, v11
	v_cmp_eq_u32_e64 s13, 0, v11
	s_waitcnt lgkmcnt(0)
	s_lshr_b32 s3, s4, 16
	s_and_b32 s4, s4, 0xffff
	v_add_co_u32 v5, vcc_lo, s16, v1
	v_add_co_ci_u32_e32 v6, vcc_lo, s17, v2, vcc_lo
	s_mov_b32 s16, 0
	v_mad_u32_u24 v0, v0, s3, v13
	s_mov_b32 s17, s16
	s_clause 0x1
	global_load_b128 v[1:4], v[5:6], off offset:16
	global_load_b128 v[5:8], v[5:6], off
	v_and_b32_e32 v12, 3, v14
	v_cmp_gt_i32_e32 vcc_lo, 0, v15
	s_mov_b32 s20, s16
	s_mov_b32 s21, s16
	v_and_b32_e32 v24, 28, v14
	v_cmp_eq_u32_e64 s1, 3, v12
	v_cmp_eq_u32_e64 s2, 2, v12
	;; [unrolled: 1-line block ×3, first 2 shown]
	v_mad_u64_u32 v[12:13], null, v0, s4, v[11:12]
	v_and_b32_e32 v0, 0x1e0, v11
	v_and_b32_e32 v13, 15, v14
	v_add_nc_u32_e32 v29, 40, v26
	v_cmp_ne_u32_e64 s14, 0, v11
	v_lshlrev_b32_e32 v31, 2, v11
	v_min_u32_e32 v0, 0x120, v0
	v_lshrrev_b32_e32 v30, 5, v12
	v_and_b32_e32 v12, 16, v14
	v_cmp_eq_u32_e64 s4, 0, v13
	v_cmp_lt_u32_e64 s5, 1, v13
	v_or_b32_e32 v0, 31, v0
	v_cmp_lt_u32_e64 s6, 3, v13
	v_cmp_eq_u32_e64 s8, 0, v12
	v_lshrrev_b32_e32 v12, 3, v11
	v_cmp_lt_u32_e64 s7, 7, v13
	v_cmp_eq_u32_e64 s9, v0, v11
	v_cndmask_b32_e32 v0, v15, v14, vcc_lo
	v_add_nc_u32_e32 v42, v34, v31
	v_and_b32_e32 v33, 60, v12
	v_add_nc_u32_e32 v41, v26, v16
	v_lshl_add_u32 v36, v11, 3, 0x2940
	v_lshlrev_b32_e32 v32, 2, v0
	v_and_b32_e32 v0, 0x780, v31
	v_add_nc_u32_e32 v35, -4, v33
	v_or_b32_e32 v43, 3, v31
	v_or_b32_e32 v44, 2, v31
	;; [unrolled: 1-line block ×7, first 2 shown]
	v_lshrrev_b32_e32 v0, 5, v0
	v_lshrrev_b32_e32 v12, 5, v12
	;; [unrolled: 1-line block ×4, first 2 shown]
	v_add_nc_u32_e32 v46, -8, v42
	v_add_lshl_u32 v37, v0, v14, 3
	v_sub_nc_u32_e32 v0, 0, v31
	v_add_lshl_u32 v38, v12, v14, 3
	v_add_lshl_u32 v39, v13, v14, 3
	;; [unrolled: 1-line block ×3, first 2 shown]
	v_mov_b32_e32 v12, s16
	v_dual_mov_b32 v14, s20 :: v_dual_mov_b32 v13, s17
	v_mov_b32_e32 v15, s21
	v_or_b32_e32 v25, 32, v24
	v_or_b32_e32 v27, 64, v24
	;; [unrolled: 1-line block ×3, first 2 shown]
	v_add_nc_u32_e32 v48, v42, v0
	s_branch .LBB57_2
.LBB57_1:                               ;   in Loop: Header=BB57_2 Depth=1
	s_or_b32 exec_lo, exec_lo, s15
	s_add_i32 s16, s16, 1
	s_delay_alu instid0(SALU_CYCLE_1)
	s_cmpk_lg_i32 s16, 0x64
	s_cbranch_scc0 .LBB57_37
.LBB57_2:                               ; =>This Loop Header: Depth=1
                                        ;     Child Loop BB57_6 Depth 2
	s_and_saveexec_b32 s15, s0
	s_cbranch_execz .LBB57_4
; %bb.3:                                ;   in Loop: Header=BB57_2 Depth=1
	v_mov_b32_e32 v11, v10
	ds_store_b64 v36, v[10:11]
.LBB57_4:                               ;   in Loop: Header=BB57_2 Depth=1
	s_or_b32 exec_lo, exec_lo, s15
	s_waitcnt vmcnt(0)
	ds_bpermute_b32 v11, v24, v6
	ds_bpermute_b32 v17, v24, v8
	;; [unrolled: 1-line block ×21, first 2 shown]
	s_waitcnt lgkmcnt(19)
	v_cndmask_b32_e64 v11, v11, v17, s3
	ds_bpermute_b32 v58, v27, v4
	s_waitcnt lgkmcnt(18)
	v_cndmask_b32_e64 v0, v0, v16, s3
	ds_bpermute_b32 v16, v28, v6
	ds_bpermute_b32 v59, v27, v3
	s_waitcnt lgkmcnt(19)
	v_cndmask_b32_e64 v6, v11, v21, s2
	ds_bpermute_b32 v11, v28, v7
	s_waitcnt lgkmcnt(18)
	v_cndmask_b32_e64 v17, v18, v19, s3
	s_waitcnt lgkmcnt(17)
	v_cndmask_b32_e64 v0, v0, v20, s2
	ds_bpermute_b32 v19, v27, v2
	ds_bpermute_b32 v20, v27, v1
	;; [unrolled: 1-line block ×7, first 2 shown]
	s_waitcnt lgkmcnt(20)
	v_cndmask_b32_e64 v1, v49, v50, s3
	v_cndmask_b32_e64 v7, v6, v23, s1
	;; [unrolled: 1-line block ×3, first 2 shown]
	s_waitcnt lgkmcnt(19)
	v_cndmask_b32_e64 v0, v17, v51, s2
	s_waitcnt lgkmcnt(15)
	v_cndmask_b32_e64 v3, v54, v56, s3
	v_cndmask_b32_e64 v17, v53, v55, s3
	s_waitcnt lgkmcnt(12)
	v_cndmask_b32_e64 v1, v1, v52, s2
	s_waitcnt lgkmcnt(9)
	v_cndmask_b32_e64 v8, v16, v8, s3
	v_cndmask_b32_e64 v0, v0, v57, s1
	s_mov_b64 s[20:21], 0
	s_waitcnt lgkmcnt(7)
	v_cndmask_b32_e64 v5, v5, v11, s3
	s_waitcnt lgkmcnt(0)
	s_barrier
	v_cndmask_b32_e64 v3, v3, v19, s2
	v_cndmask_b32_e64 v11, v17, v20, s2
	;; [unrolled: 1-line block ×9, first 2 shown]
	buffer_gl0_inv
	s_barrier
	s_branch .LBB57_6
.LBB57_5:                               ;   in Loop: Header=BB57_6 Depth=2
	v_lshrrev_b32_e32 v0, 2, v8
	v_lshrrev_b32_e32 v1, 2, v11
	;; [unrolled: 1-line block ×4, first 2 shown]
	s_delay_alu instid0(VALU_DEP_4) | instskip(NEXT) | instid1(VALU_DEP_4)
	v_and_b32_e32 v0, 0x3ffffff8, v0
	v_and_b32_e32 v1, 0x3ffffff8, v1
	s_delay_alu instid0(VALU_DEP_4) | instskip(NEXT) | instid1(VALU_DEP_4)
	v_and_b32_e32 v2, 0x3ffffff8, v2
	v_and_b32_e32 v3, 0x3ffffff8, v3
	s_barrier
	v_lshl_add_u32 v0, v8, 3, v0
	v_lshl_add_u32 v1, v11, 3, v1
	v_lshl_add_u32 v2, v49, 3, v2
	v_lshl_add_u32 v3, v50, 3, v3
	buffer_gl0_inv
	ds_store_b64 v0, v[16:17]
	ds_store_b64 v1, v[18:19]
	;; [unrolled: 1-line block ×4, first 2 shown]
	s_waitcnt lgkmcnt(0)
	s_barrier
	buffer_gl0_inv
	ds_load_b64 v[6:7], v37
	ds_load_b64 v[0:1], v38 offset:256
	ds_load_b64 v[2:3], v39 offset:512
	;; [unrolled: 1-line block ×3, first 2 shown]
	s_add_u32 s20, s20, 8
	s_addc_u32 s21, s21, 0
	s_waitcnt lgkmcnt(0)
	s_barrier
	s_cbranch_execz .LBB57_22
.LBB57_6:                               ;   Parent Loop BB57_2 Depth=1
                                        ; =>  This Inner Loop Header: Depth=2
	v_dual_mov_b32 v17, v7 :: v_dual_mov_b32 v16, v6
	buffer_gl0_inv
	ds_store_2addr_b64 v26, v[12:13], v[14:15] offset0:5 offset1:6
	ds_store_2addr_b64 v29, v[12:13], v[14:15] offset0:2 offset1:3
	s_waitcnt lgkmcnt(0)
	s_barrier
	v_lshrrev_b64 v[6:7], s20, v[16:17]
	buffer_gl0_inv
	; wave barrier
	v_and_b32_e32 v7, 1, v6
	v_lshlrev_b32_e32 v8, 30, v6
	v_lshlrev_b32_e32 v11, 29, v6
	;; [unrolled: 1-line block ×4, first 2 shown]
	v_add_co_u32 v7, s15, v7, -1
	s_delay_alu instid0(VALU_DEP_1)
	v_cndmask_b32_e64 v19, 0, 1, s15
	v_not_b32_e32 v23, v8
	v_cmp_gt_i32_e64 s15, 0, v8
	v_not_b32_e32 v8, v11
	v_lshlrev_b32_e32 v21, 26, v6
	v_cmp_ne_u32_e32 vcc_lo, 0, v19
	v_ashrrev_i32_e32 v23, 31, v23
	v_lshlrev_b32_e32 v22, 25, v6
	v_ashrrev_i32_e32 v8, 31, v8
	v_lshlrev_b32_e32 v19, 24, v6
	v_xor_b32_e32 v7, vcc_lo, v7
	v_cmp_gt_i32_e32 vcc_lo, 0, v11
	v_not_b32_e32 v11, v18
	v_xor_b32_e32 v23, s15, v23
	v_cmp_gt_i32_e64 s15, 0, v18
	v_and_b32_e32 v7, exec_lo, v7
	v_not_b32_e32 v18, v20
	v_ashrrev_i32_e32 v11, 31, v11
	v_xor_b32_e32 v8, vcc_lo, v8
	v_cmp_gt_i32_e32 vcc_lo, 0, v20
	v_and_b32_e32 v7, v7, v23
	v_not_b32_e32 v20, v21
	v_ashrrev_i32_e32 v18, 31, v18
	v_xor_b32_e32 v11, s15, v11
	v_cmp_gt_i32_e64 s15, 0, v21
	v_and_b32_e32 v7, v7, v8
	v_ashrrev_i32_e32 v20, 31, v20
	v_xor_b32_e32 v18, vcc_lo, v18
	s_delay_alu instid0(VALU_DEP_3) | instskip(NEXT) | instid1(VALU_DEP_3)
	v_and_b32_e32 v7, v7, v11
	v_xor_b32_e32 v20, s15, v20
	v_not_b32_e32 v11, v19
	v_cmp_gt_i32_e64 s15, 0, v19
	s_delay_alu instid0(VALU_DEP_4) | instskip(SKIP_1) | instid1(VALU_DEP_4)
	v_and_b32_e32 v7, v7, v18
	v_mov_b32_e32 v19, v1
	v_ashrrev_i32_e32 v11, 31, v11
	v_dual_mov_b32 v18, v0 :: v_dual_and_b32 v1, 0xff, v6
	s_delay_alu instid0(VALU_DEP_4)
	v_and_b32_e32 v7, v7, v20
	v_mov_b32_e32 v21, v5
	v_not_b32_e32 v8, v22
	v_cmp_gt_i32_e32 vcc_lo, 0, v22
	v_xor_b32_e32 v11, s15, v11
	v_mad_u32_u24 v1, v1, 10, v30
	v_mov_b32_e32 v23, v3
	v_ashrrev_i32_e32 v8, 31, v8
	v_mov_b32_e32 v22, v2
	v_mov_b32_e32 v20, v4
	s_delay_alu instid0(VALU_DEP_3) | instskip(NEXT) | instid1(VALU_DEP_1)
	v_xor_b32_e32 v8, vcc_lo, v8
	v_and_b32_e32 v7, v7, v8
	s_delay_alu instid0(VALU_DEP_1) | instskip(SKIP_1) | instid1(VALU_DEP_2)
	v_and_b32_e32 v0, v7, v11
	v_lshl_add_u32 v11, v1, 2, 40
	v_mbcnt_lo_u32_b32 v8, v0, 0
	v_cmp_ne_u32_e64 s15, 0, v0
	s_delay_alu instid0(VALU_DEP_2) | instskip(NEXT) | instid1(VALU_DEP_2)
	v_cmp_eq_u32_e32 vcc_lo, 0, v8
	s_and_b32 s17, s15, vcc_lo
	s_delay_alu instid0(SALU_CYCLE_1)
	s_and_saveexec_b32 s15, s17
	s_cbranch_execz .LBB57_8
; %bb.7:                                ;   in Loop: Header=BB57_6 Depth=2
	v_bcnt_u32_b32 v0, v0, 0
	ds_store_b32 v11, v0
.LBB57_8:                               ;   in Loop: Header=BB57_6 Depth=2
	s_or_b32 exec_lo, exec_lo, s15
	v_lshrrev_b64 v[0:1], s20, v[18:19]
	; wave barrier
	s_delay_alu instid0(VALU_DEP_1)
	v_and_b32_e32 v2, 1, v0
	v_lshlrev_b32_e32 v3, 30, v0
	v_lshlrev_b32_e32 v4, 29, v0
	;; [unrolled: 1-line block ×4, first 2 shown]
	v_add_co_u32 v2, s15, v2, -1
	s_delay_alu instid0(VALU_DEP_1)
	v_cndmask_b32_e64 v6, 0, 1, s15
	v_not_b32_e32 v51, v3
	v_cmp_gt_i32_e64 s15, 0, v3
	v_not_b32_e32 v3, v4
	v_lshlrev_b32_e32 v49, 26, v0
	v_cmp_ne_u32_e32 vcc_lo, 0, v6
	v_ashrrev_i32_e32 v6, 31, v51
	v_lshlrev_b32_e32 v50, 25, v0
	v_ashrrev_i32_e32 v3, 31, v3
	v_and_b32_e32 v1, 0xff, v0
	v_xor_b32_e32 v2, vcc_lo, v2
	v_cmp_gt_i32_e32 vcc_lo, 0, v4
	v_not_b32_e32 v4, v5
	v_xor_b32_e32 v6, s15, v6
	v_cmp_gt_i32_e64 s15, 0, v5
	v_and_b32_e32 v2, exec_lo, v2
	v_not_b32_e32 v5, v7
	v_ashrrev_i32_e32 v4, 31, v4
	v_xor_b32_e32 v3, vcc_lo, v3
	v_cmp_gt_i32_e32 vcc_lo, 0, v7
	v_and_b32_e32 v2, v2, v6
	v_not_b32_e32 v6, v49
	v_ashrrev_i32_e32 v5, 31, v5
	v_xor_b32_e32 v4, s15, v4
	v_lshlrev_b32_e32 v0, 24, v0
	v_and_b32_e32 v2, v2, v3
	v_cmp_gt_i32_e64 s15, 0, v49
	v_not_b32_e32 v3, v50
	v_ashrrev_i32_e32 v6, 31, v6
	v_xor_b32_e32 v5, vcc_lo, v5
	v_and_b32_e32 v2, v2, v4
	v_cmp_gt_i32_e32 vcc_lo, 0, v50
	v_not_b32_e32 v4, v0
	v_ashrrev_i32_e32 v3, 31, v3
	v_xor_b32_e32 v6, s15, v6
	v_and_b32_e32 v2, v2, v5
	v_mul_u32_u24_e32 v1, 10, v1
	v_cmp_gt_i32_e64 s15, 0, v0
	v_ashrrev_i32_e32 v0, 31, v4
	v_xor_b32_e32 v3, vcc_lo, v3
	v_and_b32_e32 v2, v2, v6
	v_add_lshl_u32 v1, v1, v30, 2
	s_delay_alu instid0(VALU_DEP_4) | instskip(NEXT) | instid1(VALU_DEP_3)
	v_xor_b32_e32 v0, s15, v0
	v_and_b32_e32 v2, v2, v3
	ds_load_b32 v49, v1 offset:40
	v_add_nc_u32_e32 v51, 40, v1
	; wave barrier
	v_and_b32_e32 v0, v2, v0
	s_delay_alu instid0(VALU_DEP_1) | instskip(SKIP_1) | instid1(VALU_DEP_2)
	v_mbcnt_lo_u32_b32 v50, v0, 0
	v_cmp_ne_u32_e64 s15, 0, v0
	v_cmp_eq_u32_e32 vcc_lo, 0, v50
	s_delay_alu instid0(VALU_DEP_2) | instskip(NEXT) | instid1(SALU_CYCLE_1)
	s_and_b32 s17, s15, vcc_lo
	s_and_saveexec_b32 s15, s17
	s_cbranch_execz .LBB57_10
; %bb.9:                                ;   in Loop: Header=BB57_6 Depth=2
	s_waitcnt lgkmcnt(0)
	v_bcnt_u32_b32 v0, v0, v49
	ds_store_b32 v51, v0
.LBB57_10:                              ;   in Loop: Header=BB57_6 Depth=2
	s_or_b32 exec_lo, exec_lo, s15
	v_lshrrev_b64 v[0:1], s20, v[22:23]
	; wave barrier
	s_delay_alu instid0(VALU_DEP_1)
	v_and_b32_e32 v2, 1, v0
	v_lshlrev_b32_e32 v3, 30, v0
	v_lshlrev_b32_e32 v4, 29, v0
	;; [unrolled: 1-line block ×4, first 2 shown]
	v_add_co_u32 v2, s15, v2, -1
	s_delay_alu instid0(VALU_DEP_1)
	v_cndmask_b32_e64 v6, 0, 1, s15
	v_not_b32_e32 v54, v3
	v_cmp_gt_i32_e64 s15, 0, v3
	v_not_b32_e32 v3, v4
	v_lshlrev_b32_e32 v52, 26, v0
	v_cmp_ne_u32_e32 vcc_lo, 0, v6
	v_ashrrev_i32_e32 v6, 31, v54
	v_lshlrev_b32_e32 v53, 25, v0
	v_ashrrev_i32_e32 v3, 31, v3
	v_and_b32_e32 v1, 0xff, v0
	v_xor_b32_e32 v2, vcc_lo, v2
	v_cmp_gt_i32_e32 vcc_lo, 0, v4
	v_not_b32_e32 v4, v5
	v_xor_b32_e32 v6, s15, v6
	v_cmp_gt_i32_e64 s15, 0, v5
	v_and_b32_e32 v2, exec_lo, v2
	v_not_b32_e32 v5, v7
	v_ashrrev_i32_e32 v4, 31, v4
	v_xor_b32_e32 v3, vcc_lo, v3
	v_cmp_gt_i32_e32 vcc_lo, 0, v7
	v_and_b32_e32 v2, v2, v6
	v_not_b32_e32 v6, v52
	v_ashrrev_i32_e32 v5, 31, v5
	v_xor_b32_e32 v4, s15, v4
	v_lshlrev_b32_e32 v0, 24, v0
	v_and_b32_e32 v2, v2, v3
	v_cmp_gt_i32_e64 s15, 0, v52
	v_not_b32_e32 v3, v53
	v_ashrrev_i32_e32 v6, 31, v6
	v_xor_b32_e32 v5, vcc_lo, v5
	v_and_b32_e32 v2, v2, v4
	v_cmp_gt_i32_e32 vcc_lo, 0, v53
	v_not_b32_e32 v4, v0
	v_ashrrev_i32_e32 v3, 31, v3
	v_xor_b32_e32 v6, s15, v6
	v_and_b32_e32 v2, v2, v5
	v_mul_u32_u24_e32 v1, 10, v1
	v_cmp_gt_i32_e64 s15, 0, v0
	v_ashrrev_i32_e32 v0, 31, v4
	v_xor_b32_e32 v3, vcc_lo, v3
	v_and_b32_e32 v2, v2, v6
	v_add_lshl_u32 v1, v1, v30, 2
	s_delay_alu instid0(VALU_DEP_4) | instskip(NEXT) | instid1(VALU_DEP_3)
	v_xor_b32_e32 v0, s15, v0
	v_and_b32_e32 v2, v2, v3
	ds_load_b32 v52, v1 offset:40
	v_add_nc_u32_e32 v54, 40, v1
	; wave barrier
	v_and_b32_e32 v0, v2, v0
	s_delay_alu instid0(VALU_DEP_1) | instskip(SKIP_1) | instid1(VALU_DEP_2)
	v_mbcnt_lo_u32_b32 v53, v0, 0
	v_cmp_ne_u32_e64 s15, 0, v0
	v_cmp_eq_u32_e32 vcc_lo, 0, v53
	s_delay_alu instid0(VALU_DEP_2) | instskip(NEXT) | instid1(SALU_CYCLE_1)
	s_and_b32 s17, s15, vcc_lo
	s_and_saveexec_b32 s15, s17
	s_cbranch_execz .LBB57_12
; %bb.11:                               ;   in Loop: Header=BB57_6 Depth=2
	s_waitcnt lgkmcnt(0)
	v_bcnt_u32_b32 v0, v0, v52
	ds_store_b32 v54, v0
.LBB57_12:                              ;   in Loop: Header=BB57_6 Depth=2
	s_or_b32 exec_lo, exec_lo, s15
	v_lshrrev_b64 v[0:1], s20, v[20:21]
	; wave barrier
	s_delay_alu instid0(VALU_DEP_1)
	v_and_b32_e32 v2, 1, v0
	v_lshlrev_b32_e32 v3, 30, v0
	v_lshlrev_b32_e32 v4, 29, v0
	;; [unrolled: 1-line block ×4, first 2 shown]
	v_add_co_u32 v2, s15, v2, -1
	s_delay_alu instid0(VALU_DEP_1)
	v_cndmask_b32_e64 v6, 0, 1, s15
	v_not_b32_e32 v57, v3
	v_cmp_gt_i32_e64 s15, 0, v3
	v_not_b32_e32 v3, v4
	v_lshlrev_b32_e32 v55, 26, v0
	v_cmp_ne_u32_e32 vcc_lo, 0, v6
	v_ashrrev_i32_e32 v6, 31, v57
	v_lshlrev_b32_e32 v56, 25, v0
	v_ashrrev_i32_e32 v3, 31, v3
	v_and_b32_e32 v1, 0xff, v0
	v_xor_b32_e32 v2, vcc_lo, v2
	v_cmp_gt_i32_e32 vcc_lo, 0, v4
	v_not_b32_e32 v4, v5
	v_xor_b32_e32 v6, s15, v6
	v_cmp_gt_i32_e64 s15, 0, v5
	v_and_b32_e32 v2, exec_lo, v2
	v_not_b32_e32 v5, v7
	v_ashrrev_i32_e32 v4, 31, v4
	v_xor_b32_e32 v3, vcc_lo, v3
	v_cmp_gt_i32_e32 vcc_lo, 0, v7
	v_and_b32_e32 v2, v2, v6
	v_not_b32_e32 v6, v55
	v_ashrrev_i32_e32 v5, 31, v5
	v_xor_b32_e32 v4, s15, v4
	v_lshlrev_b32_e32 v0, 24, v0
	v_and_b32_e32 v2, v2, v3
	v_cmp_gt_i32_e64 s15, 0, v55
	v_not_b32_e32 v3, v56
	v_ashrrev_i32_e32 v6, 31, v6
	v_xor_b32_e32 v5, vcc_lo, v5
	v_and_b32_e32 v2, v2, v4
	v_cmp_gt_i32_e32 vcc_lo, 0, v56
	v_not_b32_e32 v4, v0
	v_ashrrev_i32_e32 v3, 31, v3
	v_xor_b32_e32 v6, s15, v6
	v_and_b32_e32 v2, v2, v5
	v_mul_u32_u24_e32 v1, 10, v1
	v_cmp_gt_i32_e64 s15, 0, v0
	v_ashrrev_i32_e32 v0, 31, v4
	v_xor_b32_e32 v3, vcc_lo, v3
	v_and_b32_e32 v2, v2, v6
	v_add_lshl_u32 v1, v1, v30, 2
	s_delay_alu instid0(VALU_DEP_4) | instskip(NEXT) | instid1(VALU_DEP_3)
	v_xor_b32_e32 v0, s15, v0
	v_and_b32_e32 v2, v2, v3
	ds_load_b32 v55, v1 offset:40
	v_add_nc_u32_e32 v57, 40, v1
	; wave barrier
	v_and_b32_e32 v0, v2, v0
	s_delay_alu instid0(VALU_DEP_1) | instskip(SKIP_1) | instid1(VALU_DEP_2)
	v_mbcnt_lo_u32_b32 v56, v0, 0
	v_cmp_ne_u32_e64 s15, 0, v0
	v_cmp_eq_u32_e32 vcc_lo, 0, v56
	s_delay_alu instid0(VALU_DEP_2) | instskip(NEXT) | instid1(SALU_CYCLE_1)
	s_and_b32 s17, s15, vcc_lo
	s_and_saveexec_b32 s15, s17
	s_cbranch_execz .LBB57_14
; %bb.13:                               ;   in Loop: Header=BB57_6 Depth=2
	s_waitcnt lgkmcnt(0)
	v_bcnt_u32_b32 v0, v0, v55
	ds_store_b32 v57, v0
.LBB57_14:                              ;   in Loop: Header=BB57_6 Depth=2
	s_or_b32 exec_lo, exec_lo, s15
	; wave barrier
	s_waitcnt lgkmcnt(0)
	s_barrier
	buffer_gl0_inv
	ds_load_2addr_b64 v[4:7], v26 offset0:5 offset1:6
	ds_load_2addr_b64 v[0:3], v29 offset0:2 offset1:3
	s_waitcnt lgkmcnt(1)
	v_add_nc_u32_e32 v58, v5, v4
	s_delay_alu instid0(VALU_DEP_1) | instskip(SKIP_1) | instid1(VALU_DEP_1)
	v_add3_u32 v58, v58, v6, v7
	s_waitcnt lgkmcnt(0)
	v_add3_u32 v58, v58, v0, v1
	s_delay_alu instid0(VALU_DEP_1) | instskip(NEXT) | instid1(VALU_DEP_1)
	v_add3_u32 v3, v58, v2, v3
	v_mov_b32_dpp v58, v3 row_shr:1 row_mask:0xf bank_mask:0xf
	s_delay_alu instid0(VALU_DEP_1) | instskip(NEXT) | instid1(VALU_DEP_1)
	v_cndmask_b32_e64 v58, v58, 0, s4
	v_add_nc_u32_e32 v3, v58, v3
	s_delay_alu instid0(VALU_DEP_1) | instskip(NEXT) | instid1(VALU_DEP_1)
	v_mov_b32_dpp v58, v3 row_shr:2 row_mask:0xf bank_mask:0xf
	v_cndmask_b32_e64 v58, 0, v58, s5
	s_delay_alu instid0(VALU_DEP_1) | instskip(NEXT) | instid1(VALU_DEP_1)
	v_add_nc_u32_e32 v3, v3, v58
	v_mov_b32_dpp v58, v3 row_shr:4 row_mask:0xf bank_mask:0xf
	s_delay_alu instid0(VALU_DEP_1) | instskip(NEXT) | instid1(VALU_DEP_1)
	v_cndmask_b32_e64 v58, 0, v58, s6
	v_add_nc_u32_e32 v3, v3, v58
	s_delay_alu instid0(VALU_DEP_1) | instskip(NEXT) | instid1(VALU_DEP_1)
	v_mov_b32_dpp v58, v3 row_shr:8 row_mask:0xf bank_mask:0xf
	v_cndmask_b32_e64 v58, 0, v58, s7
	s_delay_alu instid0(VALU_DEP_1) | instskip(SKIP_3) | instid1(VALU_DEP_1)
	v_add_nc_u32_e32 v3, v3, v58
	ds_swizzle_b32 v58, v3 offset:swizzle(BROADCAST,32,15)
	s_waitcnt lgkmcnt(0)
	v_cndmask_b32_e64 v58, v58, 0, s8
	v_add_nc_u32_e32 v3, v3, v58
	s_and_saveexec_b32 s15, s9
	s_cbranch_execz .LBB57_16
; %bb.15:                               ;   in Loop: Header=BB57_6 Depth=2
	ds_store_b32 v33, v3
.LBB57_16:                              ;   in Loop: Header=BB57_6 Depth=2
	s_or_b32 exec_lo, exec_lo, s15
	s_waitcnt lgkmcnt(0)
	s_barrier
	buffer_gl0_inv
	s_and_saveexec_b32 s15, s10
	s_cbranch_execz .LBB57_18
; %bb.17:                               ;   in Loop: Header=BB57_6 Depth=2
	ds_load_b32 v58, v34
	s_waitcnt lgkmcnt(0)
	v_mov_b32_dpp v59, v58 row_shr:1 row_mask:0xf bank_mask:0xf
	s_delay_alu instid0(VALU_DEP_1) | instskip(NEXT) | instid1(VALU_DEP_1)
	v_cndmask_b32_e64 v59, v59, 0, s4
	v_add_nc_u32_e32 v58, v59, v58
	s_delay_alu instid0(VALU_DEP_1) | instskip(NEXT) | instid1(VALU_DEP_1)
	v_mov_b32_dpp v59, v58 row_shr:2 row_mask:0xf bank_mask:0xf
	v_cndmask_b32_e64 v59, 0, v59, s5
	s_delay_alu instid0(VALU_DEP_1) | instskip(NEXT) | instid1(VALU_DEP_1)
	v_add_nc_u32_e32 v58, v58, v59
	v_mov_b32_dpp v59, v58 row_shr:4 row_mask:0xf bank_mask:0xf
	s_delay_alu instid0(VALU_DEP_1) | instskip(NEXT) | instid1(VALU_DEP_1)
	v_cndmask_b32_e64 v59, 0, v59, s6
	v_add_nc_u32_e32 v58, v58, v59
	s_delay_alu instid0(VALU_DEP_1) | instskip(NEXT) | instid1(VALU_DEP_1)
	v_mov_b32_dpp v59, v58 row_shr:8 row_mask:0xf bank_mask:0xf
	v_cndmask_b32_e64 v59, 0, v59, s7
	s_delay_alu instid0(VALU_DEP_1)
	v_add_nc_u32_e32 v58, v58, v59
	ds_store_b32 v34, v58
.LBB57_18:                              ;   in Loop: Header=BB57_6 Depth=2
	s_or_b32 exec_lo, exec_lo, s15
	v_mov_b32_e32 v58, 0
	s_waitcnt lgkmcnt(0)
	s_barrier
	buffer_gl0_inv
	s_and_saveexec_b32 s15, s11
	s_cbranch_execz .LBB57_20
; %bb.19:                               ;   in Loop: Header=BB57_6 Depth=2
	ds_load_b32 v58, v35
.LBB57_20:                              ;   in Loop: Header=BB57_6 Depth=2
	s_or_b32 exec_lo, exec_lo, s15
	s_waitcnt lgkmcnt(0)
	v_add_nc_u32_e32 v3, v58, v3
	s_cmp_gt_u32 s20, 55
	ds_bpermute_b32 v3, v32, v3
	s_waitcnt lgkmcnt(0)
	v_cndmask_b32_e64 v3, v3, v58, s12
	s_delay_alu instid0(VALU_DEP_1) | instskip(NEXT) | instid1(VALU_DEP_1)
	v_cndmask_b32_e64 v3, v3, 0, s13
	v_add_nc_u32_e32 v4, v3, v4
	s_delay_alu instid0(VALU_DEP_1) | instskip(NEXT) | instid1(VALU_DEP_1)
	v_add_nc_u32_e32 v5, v4, v5
	v_add_nc_u32_e32 v6, v5, v6
	s_delay_alu instid0(VALU_DEP_1) | instskip(NEXT) | instid1(VALU_DEP_1)
	v_add_nc_u32_e32 v58, v6, v7
	v_add_nc_u32_e32 v59, v58, v0
	s_delay_alu instid0(VALU_DEP_1) | instskip(NEXT) | instid1(VALU_DEP_1)
	v_add_nc_u32_e32 v0, v59, v1
	v_add_nc_u32_e32 v1, v0, v2
	ds_store_2addr_b64 v26, v[3:4], v[5:6] offset0:5 offset1:6
	ds_store_2addr_b64 v29, v[58:59], v[0:1] offset0:2 offset1:3
	s_waitcnt lgkmcnt(0)
	s_barrier
	buffer_gl0_inv
	ds_load_b32 v0, v11
	ds_load_b32 v1, v51
	;; [unrolled: 1-line block ×4, first 2 shown]
	s_waitcnt lgkmcnt(3)
	v_add_nc_u32_e32 v8, v0, v8
	s_waitcnt lgkmcnt(2)
	v_add3_u32 v11, v50, v49, v1
	s_waitcnt lgkmcnt(1)
	v_add3_u32 v49, v53, v52, v2
	;; [unrolled: 2-line block ×3, first 2 shown]
	s_cbranch_scc0 .LBB57_5
; %bb.21:                               ;   in Loop: Header=BB57_2 Depth=1
                                        ; implicit-def: $vgpr6_vgpr7
                                        ; implicit-def: $vgpr0_vgpr1
                                        ; implicit-def: $vgpr2_vgpr3
                                        ; implicit-def: $vgpr4_vgpr5
                                        ; implicit-def: $sgpr20_sgpr21
.LBB57_22:                              ;   in Loop: Header=BB57_2 Depth=1
	v_lshrrev_b32_e32 v0, 2, v8
	v_lshrrev_b32_e32 v1, 2, v11
	;; [unrolled: 1-line block ×4, first 2 shown]
	s_delay_alu instid0(VALU_DEP_4) | instskip(NEXT) | instid1(VALU_DEP_4)
	v_and_b32_e32 v0, 0x3ffffff8, v0
	v_and_b32_e32 v1, 0x3ffffff8, v1
	s_delay_alu instid0(VALU_DEP_4) | instskip(NEXT) | instid1(VALU_DEP_4)
	v_and_b32_e32 v2, 0x3ffffff8, v2
	v_and_b32_e32 v3, 0x3ffffff8, v3
	s_barrier
	v_lshl_add_u32 v0, v8, 3, v0
	v_lshl_add_u32 v1, v11, 3, v1
	;; [unrolled: 1-line block ×4, first 2 shown]
	buffer_gl0_inv
	ds_store_b64 v0, v[16:17]
	ds_store_b64 v1, v[18:19]
	;; [unrolled: 1-line block ×4, first 2 shown]
	s_waitcnt lgkmcnt(0)
	s_barrier
	buffer_gl0_inv
	ds_load_2addr_b64 v[5:8], v41 offset1:1
	ds_load_2addr_b64 v[1:4], v41 offset0:2 offset1:3
	s_waitcnt lgkmcnt(0)
	s_barrier
	buffer_gl0_inv
	s_and_saveexec_b32 s15, s0
	s_cbranch_execz .LBB57_24
; %bb.23:                               ;   in Loop: Header=BB57_2 Depth=1
	ds_store_2addr_stride64_b32 v48, v47, v47 offset0:20 offset1:25
.LBB57_24:                              ;   in Loop: Header=BB57_2 Depth=1
	s_or_b32 exec_lo, exec_lo, s15
	v_lshlrev_b32_e32 v0, 2, v1
	s_mov_b32 s15, exec_lo
	s_waitcnt lgkmcnt(0)
	s_barrier
	buffer_gl0_inv
	ds_store_b64 v42, v[3:4]
	v_cmpx_ne_u32_e64 v1, v3
	s_cbranch_execz .LBB57_26
; %bb.25:                               ;   in Loop: Header=BB57_2 Depth=1
	v_lshlrev_b32_e32 v11, 2, v3
	ds_store_b32 v11, v43 offset:5120
	ds_store_b32 v0, v43 offset:6400
.LBB57_26:                              ;   in Loop: Header=BB57_2 Depth=1
	s_or_b32 exec_lo, exec_lo, s15
	v_dual_mov_b32 v16, v1 :: v_dual_lshlrev_b32 v11, 2, v7
	s_mov_b32 s15, exec_lo
	v_cmpx_ne_u32_e64 v1, v7
	s_cbranch_execz .LBB57_28
; %bb.27:                               ;   in Loop: Header=BB57_2 Depth=1
	v_mov_b32_e32 v16, v7
	ds_store_b32 v0, v44 offset:5120
	ds_store_b32 v11, v44 offset:6400
.LBB57_28:                              ;   in Loop: Header=BB57_2 Depth=1
	s_or_b32 exec_lo, exec_lo, s15
	v_lshlrev_b32_e32 v0, 2, v5
	s_mov_b32 s15, exec_lo
	v_cmpx_ne_u32_e64 v16, v5
	s_cbranch_execz .LBB57_30
; %bb.29:                               ;   in Loop: Header=BB57_2 Depth=1
	ds_store_b32 v11, v45 offset:5120
	ds_store_b32 v0, v45 offset:6400
.LBB57_30:                              ;   in Loop: Header=BB57_2 Depth=1
	s_or_b32 exec_lo, exec_lo, s15
	s_waitcnt lgkmcnt(0)
	s_barrier
	buffer_gl0_inv
	s_and_saveexec_b32 s15, s14
	s_cbranch_execz .LBB57_33
; %bb.31:                               ;   in Loop: Header=BB57_2 Depth=1
	ds_load_b32 v11, v46
	s_waitcnt lgkmcnt(0)
	v_cmp_ne_u32_e32 vcc_lo, v11, v5
	s_and_b32 exec_lo, exec_lo, vcc_lo
	s_cbranch_execz .LBB57_33
; %bb.32:                               ;   in Loop: Header=BB57_2 Depth=1
	ds_store_b32 v0, v31 offset:5120
	ds_load_b32 v11, v46
	s_waitcnt lgkmcnt(0)
	v_lshlrev_b32_e32 v11, 2, v11
	ds_store_b32 v11, v31 offset:6400
.LBB57_33:                              ;   in Loop: Header=BB57_2 Depth=1
	s_or_b32 exec_lo, exec_lo, s15
	s_waitcnt lgkmcnt(0)
	s_barrier
	buffer_gl0_inv
	s_and_saveexec_b32 s15, s13
	s_cbranch_execz .LBB57_35
; %bb.34:                               ;   in Loop: Header=BB57_2 Depth=1
	ds_store_b32 v0, v10 offset:5120
.LBB57_35:                              ;   in Loop: Header=BB57_2 Depth=1
	s_or_b32 exec_lo, exec_lo, s15
	s_waitcnt lgkmcnt(0)
	s_barrier
	buffer_gl0_inv
	s_and_saveexec_b32 s15, s0
	s_cbranch_execz .LBB57_1
; %bb.36:                               ;   in Loop: Header=BB57_2 Depth=1
	ds_load_2addr_stride64_b32 v[16:17], v48 offset0:20 offset1:25
	ds_load_b64 v[18:19], v36
	s_waitcnt lgkmcnt(1)
	v_sub_nc_u32_e32 v0, v17, v16
	s_waitcnt lgkmcnt(0)
	s_delay_alu instid0(VALU_DEP_1)
	v_add_co_u32 v16, vcc_lo, v18, v0
	v_add_co_ci_u32_e32 v17, vcc_lo, 0, v19, vcc_lo
	ds_store_b64 v36, v[16:17]
	s_branch .LBB57_1
.LBB57_37:
	s_and_saveexec_b32 s1, s0
	s_cbranch_execz .LBB57_39
; %bb.38:
	ds_load_b64 v[0:1], v36
	v_mov_b32_e32 v10, 0
	s_delay_alu instid0(VALU_DEP_1) | instskip(NEXT) | instid1(VALU_DEP_1)
	v_lshlrev_b64 v[2:3], 3, v[9:10]
	v_add_co_u32 v2, vcc_lo, s18, v2
	s_delay_alu instid0(VALU_DEP_2)
	v_add_co_ci_u32_e32 v3, vcc_lo, s19, v3, vcc_lo
	s_waitcnt lgkmcnt(0)
	global_store_b64 v[2:3], v[0:1], off
.LBB57_39:
	s_nop 0
	s_sendmsg sendmsg(MSG_DEALLOC_VGPRS)
	s_endpgm
	.section	.rodata,"a",@progbits
	.p2align	6, 0x0
	.amdhsa_kernel _Z6kernelI9histogramILN6hipcub23BlockHistogramAlgorithmE1EEyLj320ELj4ELj320ELj100EEvPKT0_PS4_
		.amdhsa_group_segment_fixed_size 13120
		.amdhsa_private_segment_fixed_size 0
		.amdhsa_kernarg_size 272
		.amdhsa_user_sgpr_count 15
		.amdhsa_user_sgpr_dispatch_ptr 0
		.amdhsa_user_sgpr_queue_ptr 0
		.amdhsa_user_sgpr_kernarg_segment_ptr 1
		.amdhsa_user_sgpr_dispatch_id 0
		.amdhsa_user_sgpr_private_segment_size 0
		.amdhsa_wavefront_size32 1
		.amdhsa_uses_dynamic_stack 0
		.amdhsa_enable_private_segment 0
		.amdhsa_system_sgpr_workgroup_id_x 1
		.amdhsa_system_sgpr_workgroup_id_y 0
		.amdhsa_system_sgpr_workgroup_id_z 0
		.amdhsa_system_sgpr_workgroup_info 0
		.amdhsa_system_vgpr_workitem_id 2
		.amdhsa_next_free_vgpr 61
		.amdhsa_next_free_sgpr 22
		.amdhsa_reserve_vcc 1
		.amdhsa_float_round_mode_32 0
		.amdhsa_float_round_mode_16_64 0
		.amdhsa_float_denorm_mode_32 3
		.amdhsa_float_denorm_mode_16_64 3
		.amdhsa_dx10_clamp 1
		.amdhsa_ieee_mode 1
		.amdhsa_fp16_overflow 0
		.amdhsa_workgroup_processor_mode 1
		.amdhsa_memory_ordered 1
		.amdhsa_forward_progress 0
		.amdhsa_shared_vgpr_count 0
		.amdhsa_exception_fp_ieee_invalid_op 0
		.amdhsa_exception_fp_denorm_src 0
		.amdhsa_exception_fp_ieee_div_zero 0
		.amdhsa_exception_fp_ieee_overflow 0
		.amdhsa_exception_fp_ieee_underflow 0
		.amdhsa_exception_fp_ieee_inexact 0
		.amdhsa_exception_int_div_zero 0
	.end_amdhsa_kernel
	.section	.text._Z6kernelI9histogramILN6hipcub23BlockHistogramAlgorithmE1EEyLj320ELj4ELj320ELj100EEvPKT0_PS4_,"axG",@progbits,_Z6kernelI9histogramILN6hipcub23BlockHistogramAlgorithmE1EEyLj320ELj4ELj320ELj100EEvPKT0_PS4_,comdat
.Lfunc_end57:
	.size	_Z6kernelI9histogramILN6hipcub23BlockHistogramAlgorithmE1EEyLj320ELj4ELj320ELj100EEvPKT0_PS4_, .Lfunc_end57-_Z6kernelI9histogramILN6hipcub23BlockHistogramAlgorithmE1EEyLj320ELj4ELj320ELj100EEvPKT0_PS4_
                                        ; -- End function
	.section	.AMDGPU.csdata,"",@progbits
; Kernel info:
; codeLenInByte = 3964
; NumSgprs: 24
; NumVgprs: 61
; ScratchSize: 0
; MemoryBound: 0
; FloatMode: 240
; IeeeMode: 1
; LDSByteSize: 13120 bytes/workgroup (compile time only)
; SGPRBlocks: 2
; VGPRBlocks: 7
; NumSGPRsForWavesPerEU: 24
; NumVGPRsForWavesPerEU: 61
; Occupancy: 15
; WaveLimiterHint : 0
; COMPUTE_PGM_RSRC2:SCRATCH_EN: 0
; COMPUTE_PGM_RSRC2:USER_SGPR: 15
; COMPUTE_PGM_RSRC2:TRAP_HANDLER: 0
; COMPUTE_PGM_RSRC2:TGID_X_EN: 1
; COMPUTE_PGM_RSRC2:TGID_Y_EN: 0
; COMPUTE_PGM_RSRC2:TGID_Z_EN: 0
; COMPUTE_PGM_RSRC2:TIDIG_COMP_CNT: 2
	.section	.text._Z6kernelI9histogramILN6hipcub23BlockHistogramAlgorithmE1EEyLj320ELj8ELj320ELj100EEvPKT0_PS4_,"axG",@progbits,_Z6kernelI9histogramILN6hipcub23BlockHistogramAlgorithmE1EEyLj320ELj8ELj320ELj100EEvPKT0_PS4_,comdat
	.protected	_Z6kernelI9histogramILN6hipcub23BlockHistogramAlgorithmE1EEyLj320ELj8ELj320ELj100EEvPKT0_PS4_ ; -- Begin function _Z6kernelI9histogramILN6hipcub23BlockHistogramAlgorithmE1EEyLj320ELj8ELj320ELj100EEvPKT0_PS4_
	.globl	_Z6kernelI9histogramILN6hipcub23BlockHistogramAlgorithmE1EEyLj320ELj8ELj320ELj100EEvPKT0_PS4_
	.p2align	8
	.type	_Z6kernelI9histogramILN6hipcub23BlockHistogramAlgorithmE1EEyLj320ELj8ELj320ELj100EEvPKT0_PS4_,@function
_Z6kernelI9histogramILN6hipcub23BlockHistogramAlgorithmE1EEyLj320ELj8ELj320ELj100EEvPKT0_PS4_: ; @_Z6kernelI9histogramILN6hipcub23BlockHistogramAlgorithmE1EEyLj320ELj8ELj320ELj100EEvPKT0_PS4_
; %bb.0:
	v_and_b32_e32 v19, 0x3ff, v0
	s_clause 0x1
	s_load_b128 s[16:19], s[0:1], 0x0
	s_load_b32 s1, s[0:1], 0x1c
	v_mbcnt_lo_u32_b32 v22, -1, 0
	s_mov_b32 s14, 0
	v_mad_u64_u32 v[17:18], null, 0x140, s15, v[19:20]
	v_dual_mov_b32 v18, 0 :: v_dual_and_b32 v23, 0x1e0, v19
	v_lshlrev_b32_e32 v35, 3, v19
	v_lshlrev_b32_e32 v45, 5, v19
	v_cmp_gt_u32_e64 s0, 0x140, v19
	s_delay_alu instid0(VALU_DEP_4)
	v_dual_mov_b32 v2, v18 :: v_dual_lshlrev_b32 v1, 3, v17
	v_or_b32_e32 v20, v22, v23
	v_and_b32_e32 v24, 0xf00, v35
	v_mad_i32_i24 v57, 0xffffffe4, v19, v45
	v_add_nc_u32_e32 v47, 40, v45
	v_lshlrev_b64 v[1:2], 3, v[1:2]
	v_lshlrev_b32_e32 v21, 1, v20
	v_or_b32_e32 v25, 32, v24
	v_lshrrev_b32_e32 v26, 5, v24
	v_or_b32_e32 v28, 0x80, v24
	v_or_b32_e32 v27, 0x60, v24
	s_waitcnt lgkmcnt(0)
	v_add_co_u32 v13, vcc_lo, s16, v1
	v_add_co_ci_u32_e32 v14, vcc_lo, s17, v2, vcc_lo
	v_and_b32_e32 v21, 0x3f8, v21
	v_lshrrev_b32_e32 v25, 5, v25
	s_lshr_b32 s2, s1, 16
	s_clause 0x3
	global_load_b128 v[1:4], v[13:14], off offset:48
	global_load_b128 v[5:8], v[13:14], off offset:32
	;; [unrolled: 1-line block ×3, first 2 shown]
	global_load_b128 v[13:16], v[13:14], off
	s_and_b32 s1, s1, 0xffff
	v_lshl_add_u32 v36, v20, 6, v21
	v_or_b32_e32 v20, v22, v24
	v_or_b32_e32 v21, 64, v24
	v_cmp_gt_u32_e64 s7, 10, v19
	v_cmp_lt_u32_e64 s8, 31, v19
	v_cmp_eq_u32_e64 s9, 0, v22
	v_add_lshl_u32 v37, v26, v20, 3
	v_lshrrev_b32_e32 v21, 5, v21
	v_lshrrev_b32_e32 v26, 5, v28
	v_add_lshl_u32 v38, v25, v20, 3
	v_lshrrev_b32_e32 v25, 5, v27
	v_or_b32_e32 v27, 0xc0, v24
	v_add_lshl_u32 v39, v21, v20, 3
	v_or_b32_e32 v21, 0xa0, v24
	v_add_lshl_u32 v41, v26, v20, 3
	v_or_b32_e32 v24, 0xe0, v24
	v_bfe_u32 v26, v0, 10, 10
	v_bfe_u32 v0, v0, 20, 10
	v_add_lshl_u32 v40, v25, v20, 3
	v_lshrrev_b32_e32 v21, 5, v21
	v_lshrrev_b32_e32 v25, 5, v27
	;; [unrolled: 1-line block ×3, first 2 shown]
	v_mad_u32_u24 v0, v0, s2, v26
	v_mov_b32_e32 v63, 0xa00
	v_add_lshl_u32 v42, v21, v20, 3
	v_add_lshl_u32 v43, v25, v20, 3
	;; [unrolled: 1-line block ×3, first 2 shown]
	v_mad_u64_u32 v[20:21], null, v0, s1, v[19:20]
	v_and_b32_e32 v0, 15, v22
	v_and_b32_e32 v21, 16, v22
	v_cmp_eq_u32_e64 s10, 0, v19
	v_cmp_ne_u32_e64 s11, 0, v19
	s_mov_b32 s15, s14
	v_cmp_eq_u32_e64 s1, 0, v0
	v_lshrrev_b32_e32 v54, 5, v20
	v_min_u32_e32 v20, 0x120, v23
	v_add_nc_u32_e32 v23, -1, v22
	v_cmp_lt_u32_e64 s2, 1, v0
	v_cmp_lt_u32_e64 s3, 3, v0
	;; [unrolled: 1-line block ×3, first 2 shown]
	v_or_b32_e32 v20, 31, v20
	v_cmp_gt_i32_e32 vcc_lo, 0, v23
	v_cmp_eq_u32_e64 s5, 0, v21
	s_mov_b32 s16, s14
	s_mov_b32 s17, s14
	v_cmp_eq_u32_e64 s6, v20, v19
	v_cndmask_b32_e32 v0, v23, v22, vcc_lo
	v_lshrrev_b32_e32 v20, 3, v19
	v_or_b32_e32 v46, 1, v35
	v_or_b32_e32 v48, 2, v35
	;; [unrolled: 1-line block ×3, first 2 shown]
	v_lshlrev_b32_e32 v55, 2, v0
	v_lshlrev_b32_e32 v0, 2, v19
	v_and_b32_e32 v58, 60, v20
	v_lshrrev_b32_e32 v20, 2, v19
	v_or_b32_e32 v50, 4, v35
	v_or_b32_e32 v51, 5, v35
	v_add_nc_u32_e32 v59, v57, v0
	v_sub_nc_u32_e32 v0, 0, v0
	v_or_b32_e32 v52, 6, v35
	v_or_b32_e32 v53, 7, v35
	v_add_nc_u32_e32 v60, -4, v58
	v_add_lshl_u32 v61, v20, v35, 3
	v_add_nc_u32_e32 v56, 0x5280, v35
	v_add_nc_u32_e32 v62, -8, v59
	v_add_nc_u32_e32 v64, v59, v0
	s_mov_b32 s13, s14
	s_branch .LBB58_2
.LBB58_1:                               ;   in Loop: Header=BB58_2 Depth=1
	s_or_b32 exec_lo, exec_lo, s12
	s_add_i32 s13, s13, 1
	s_delay_alu instid0(SALU_CYCLE_1)
	s_cmpk_lg_i32 s13, 0x64
	s_cbranch_scc0 .LBB58_53
.LBB58_2:                               ; =>This Loop Header: Depth=1
                                        ;     Child Loop BB58_6 Depth 2
	s_and_saveexec_b32 s12, s0
	s_cbranch_execz .LBB58_4
; %bb.3:                                ;   in Loop: Header=BB58_2 Depth=1
	v_mov_b32_e32 v19, v18
	ds_store_b64 v56, v[18:19]
.LBB58_4:                               ;   in Loop: Header=BB58_2 Depth=1
	s_or_b32 exec_lo, exec_lo, s12
	s_waitcnt vmcnt(0) lgkmcnt(0)
	s_barrier
	buffer_gl0_inv
	ds_store_2addr_b64 v36, v[13:14], v[15:16] offset1:1
	ds_store_2addr_b64 v36, v[9:10], v[11:12] offset0:2 offset1:3
	ds_store_2addr_b64 v36, v[5:6], v[7:8] offset0:4 offset1:5
	;; [unrolled: 1-line block ×3, first 2 shown]
	; wave barrier
	ds_load_b64 v[33:34], v37
	ds_load_b64 v[0:1], v38 offset:256
	ds_load_b64 v[2:3], v39 offset:512
	;; [unrolled: 1-line block ×7, first 2 shown]
	s_mov_b64 s[20:21], 0
	s_waitcnt lgkmcnt(0)
	s_barrier
	buffer_gl0_inv
	; wave barrier
	s_barrier
	s_branch .LBB58_6
.LBB58_5:                               ;   in Loop: Header=BB58_6 Depth=2
	v_lshrrev_b32_e32 v0, 2, v69
	v_lshrrev_b32_e32 v1, 2, v72
	;; [unrolled: 1-line block ×4, first 2 shown]
	s_delay_alu instid0(VALU_DEP_4) | instskip(NEXT) | instid1(VALU_DEP_4)
	v_and_b32_e32 v0, 0x3ffffff8, v0
	v_and_b32_e32 v1, 0x3ffffff8, v1
	s_delay_alu instid0(VALU_DEP_4)
	v_and_b32_e32 v2, 0x3ffffff8, v2
	s_barrier
	buffer_gl0_inv
	v_lshl_add_u32 v0, v69, 3, v0
	v_lshl_add_u32 v1, v72, 3, v1
	;; [unrolled: 1-line block ×3, first 2 shown]
	v_lshrrev_b32_e32 v4, 2, v68
	v_and_b32_e32 v3, 0x3ffffff8, v3
	ds_store_b64 v0, v[8:9]
	ds_store_b64 v1, v[25:26]
	;; [unrolled: 1-line block ×3, first 2 shown]
	v_lshrrev_b32_e32 v0, 2, v65
	v_lshrrev_b32_e32 v1, 2, v66
	;; [unrolled: 1-line block ×3, first 2 shown]
	v_and_b32_e32 v4, 0x3ffffff8, v4
	v_lshl_add_u32 v3, v16, 3, v3
	v_and_b32_e32 v0, 0x3ffffff8, v0
	v_and_b32_e32 v1, 0x3ffffff8, v1
	;; [unrolled: 1-line block ×3, first 2 shown]
	v_lshl_add_u32 v4, v68, 3, v4
	s_add_u32 s20, s20, 8
	v_lshl_add_u32 v0, v65, 3, v0
	v_lshl_add_u32 v1, v66, 3, v1
	v_lshl_add_u32 v2, v67, 3, v2
	ds_store_b64 v3, v[10:11]
	ds_store_b64 v0, v[19:20]
	;; [unrolled: 1-line block ×5, first 2 shown]
	s_waitcnt lgkmcnt(0)
	s_barrier
	buffer_gl0_inv
	ds_load_b64 v[33:34], v37
	ds_load_b64 v[0:1], v38 offset:256
	ds_load_b64 v[2:3], v39 offset:512
	;; [unrolled: 1-line block ×7, first 2 shown]
	s_addc_u32 s21, s21, 0
	s_waitcnt lgkmcnt(0)
	s_barrier
	s_cbranch_execz .LBB58_30
.LBB58_6:                               ;   Parent Loop BB58_2 Depth=1
                                        ; =>  This Inner Loop Header: Depth=2
	v_dual_mov_b32 v8, v33 :: v_dual_mov_b32 v9, v34
	buffer_gl0_inv
	v_mov_b32_e32 v26, v1
	v_dual_mov_b32 v24, v3 :: v_dual_mov_b32 v25, v0
	v_lshrrev_b64 v[33:34], s20, v[8:9]
	v_mov_b32_e32 v23, v2
	v_dual_mov_b32 v1, s14 :: v_dual_mov_b32 v2, s15
	v_dual_mov_b32 v21, v29 :: v_dual_mov_b32 v22, v30
	s_delay_alu instid0(VALU_DEP_4)
	v_and_b32_e32 v10, 1, v33
	v_lshlrev_b32_e32 v11, 30, v33
	v_lshlrev_b32_e32 v12, 29, v33
	;; [unrolled: 1-line block ×4, first 2 shown]
	v_add_co_u32 v10, s12, v10, -1
	s_delay_alu instid0(VALU_DEP_1)
	v_cndmask_b32_e64 v14, 0, 1, s12
	v_not_b32_e32 v20, v11
	v_cmp_gt_i32_e64 s12, 0, v11
	v_not_b32_e32 v11, v12
	v_lshlrev_b32_e32 v16, 26, v33
	v_cmp_ne_u32_e32 vcc_lo, 0, v14
	v_ashrrev_i32_e32 v20, 31, v20
	v_lshlrev_b32_e32 v19, 25, v33
	v_ashrrev_i32_e32 v11, 31, v11
	v_lshlrev_b32_e32 v14, 24, v33
	v_xor_b32_e32 v10, vcc_lo, v10
	v_cmp_gt_i32_e32 vcc_lo, 0, v12
	v_not_b32_e32 v12, v13
	v_xor_b32_e32 v20, s12, v20
	v_cmp_gt_i32_e64 s12, 0, v13
	v_and_b32_e32 v10, exec_lo, v10
	v_not_b32_e32 v13, v15
	v_ashrrev_i32_e32 v12, 31, v12
	v_xor_b32_e32 v11, vcc_lo, v11
	v_cmp_gt_i32_e32 vcc_lo, 0, v15
	v_and_b32_e32 v10, v10, v20
	v_not_b32_e32 v15, v16
	v_ashrrev_i32_e32 v13, 31, v13
	v_xor_b32_e32 v12, s12, v12
	v_cmp_gt_i32_e64 s12, 0, v16
	v_and_b32_e32 v10, v10, v11
	v_not_b32_e32 v11, v19
	v_ashrrev_i32_e32 v15, 31, v15
	v_xor_b32_e32 v13, vcc_lo, v13
	v_cmp_gt_i32_e32 vcc_lo, 0, v19
	v_and_b32_e32 v10, v10, v12
	v_mov_b32_e32 v20, v5
	v_ashrrev_i32_e32 v11, 31, v11
	v_xor_b32_e32 v15, s12, v15
	v_mov_b32_e32 v19, v4
	v_and_b32_e32 v5, 0xff, v33
	v_not_b32_e32 v12, v14
	v_and_b32_e32 v10, v10, v13
	v_cmp_gt_i32_e64 s12, 0, v14
	v_xor_b32_e32 v13, vcc_lo, v11
	s_delay_alu instid0(VALU_DEP_4) | instskip(NEXT) | instid1(VALU_DEP_4)
	v_ashrrev_i32_e32 v12, 31, v12
	v_dual_mov_b32 v11, v7 :: v_dual_and_b32 v14, v10, v15
	v_mov_b32_e32 v10, v6
	s_delay_alu instid0(VALU_DEP_3) | instskip(NEXT) | instid1(VALU_DEP_3)
	v_xor_b32_e32 v0, s12, v12
	v_dual_mov_b32 v12, v31 :: v_dual_and_b32 v3, v14, v13
	v_dual_mov_b32 v14, v27 :: v_dual_mov_b32 v15, v28
	s_delay_alu instid0(VALU_DEP_2)
	v_dual_mov_b32 v13, v32 :: v_dual_and_b32 v0, v3, v0
	v_dual_mov_b32 v3, s16 :: v_dual_mov_b32 v4, s17
	ds_store_2addr_b64 v45, v[1:2], v[3:4] offset0:5 offset1:6
	ds_store_2addr_b64 v47, v[1:2], v[3:4] offset0:2 offset1:3
	v_mbcnt_lo_u32_b32 v16, v0, 0
	v_mad_u32_u24 v1, v5, 10, v54
	v_cmp_ne_u32_e64 s12, 0, v0
	s_waitcnt lgkmcnt(0)
	s_barrier
	v_cmp_eq_u32_e32 vcc_lo, 0, v16
	v_lshl_add_u32 v27, v1, 2, 40
	buffer_gl0_inv
	; wave barrier
	s_and_b32 s22, s12, vcc_lo
	s_delay_alu instid0(SALU_CYCLE_1)
	s_and_saveexec_b32 s12, s22
	s_cbranch_execz .LBB58_8
; %bb.7:                                ;   in Loop: Header=BB58_6 Depth=2
	v_bcnt_u32_b32 v0, v0, 0
	ds_store_b32 v27, v0
.LBB58_8:                               ;   in Loop: Header=BB58_6 Depth=2
	s_or_b32 exec_lo, exec_lo, s12
	v_lshrrev_b64 v[0:1], s20, v[25:26]
	; wave barrier
	s_delay_alu instid0(VALU_DEP_1)
	v_and_b32_e32 v2, 1, v0
	v_lshlrev_b32_e32 v3, 30, v0
	v_lshlrev_b32_e32 v4, 29, v0
	;; [unrolled: 1-line block ×4, first 2 shown]
	v_add_co_u32 v2, s12, v2, -1
	s_delay_alu instid0(VALU_DEP_1)
	v_cndmask_b32_e64 v6, 0, 1, s12
	v_not_b32_e32 v30, v3
	v_cmp_gt_i32_e64 s12, 0, v3
	v_not_b32_e32 v3, v4
	v_lshlrev_b32_e32 v28, 26, v0
	v_cmp_ne_u32_e32 vcc_lo, 0, v6
	v_ashrrev_i32_e32 v6, 31, v30
	v_lshlrev_b32_e32 v29, 25, v0
	v_ashrrev_i32_e32 v3, 31, v3
	v_and_b32_e32 v1, 0xff, v0
	v_xor_b32_e32 v2, vcc_lo, v2
	v_cmp_gt_i32_e32 vcc_lo, 0, v4
	v_not_b32_e32 v4, v5
	v_xor_b32_e32 v6, s12, v6
	v_cmp_gt_i32_e64 s12, 0, v5
	v_and_b32_e32 v2, exec_lo, v2
	v_not_b32_e32 v5, v7
	v_ashrrev_i32_e32 v4, 31, v4
	v_xor_b32_e32 v3, vcc_lo, v3
	v_cmp_gt_i32_e32 vcc_lo, 0, v7
	v_and_b32_e32 v2, v2, v6
	v_not_b32_e32 v6, v28
	v_ashrrev_i32_e32 v5, 31, v5
	v_xor_b32_e32 v4, s12, v4
	v_lshlrev_b32_e32 v0, 24, v0
	v_and_b32_e32 v2, v2, v3
	v_cmp_gt_i32_e64 s12, 0, v28
	v_not_b32_e32 v3, v29
	v_ashrrev_i32_e32 v6, 31, v6
	v_xor_b32_e32 v5, vcc_lo, v5
	v_and_b32_e32 v2, v2, v4
	v_cmp_gt_i32_e32 vcc_lo, 0, v29
	v_not_b32_e32 v4, v0
	v_ashrrev_i32_e32 v3, 31, v3
	v_xor_b32_e32 v6, s12, v6
	v_and_b32_e32 v2, v2, v5
	v_mul_u32_u24_e32 v1, 10, v1
	v_cmp_gt_i32_e64 s12, 0, v0
	v_ashrrev_i32_e32 v0, 31, v4
	v_xor_b32_e32 v3, vcc_lo, v3
	v_and_b32_e32 v2, v2, v6
	v_add_lshl_u32 v1, v1, v54, 2
	s_delay_alu instid0(VALU_DEP_4) | instskip(NEXT) | instid1(VALU_DEP_3)
	v_xor_b32_e32 v0, s12, v0
	v_and_b32_e32 v2, v2, v3
	ds_load_b32 v28, v1 offset:40
	v_add_nc_u32_e32 v30, 40, v1
	; wave barrier
	v_and_b32_e32 v0, v2, v0
	s_delay_alu instid0(VALU_DEP_1) | instskip(SKIP_1) | instid1(VALU_DEP_2)
	v_mbcnt_lo_u32_b32 v29, v0, 0
	v_cmp_ne_u32_e64 s12, 0, v0
	v_cmp_eq_u32_e32 vcc_lo, 0, v29
	s_delay_alu instid0(VALU_DEP_2) | instskip(NEXT) | instid1(SALU_CYCLE_1)
	s_and_b32 s22, s12, vcc_lo
	s_and_saveexec_b32 s12, s22
	s_cbranch_execz .LBB58_10
; %bb.9:                                ;   in Loop: Header=BB58_6 Depth=2
	s_waitcnt lgkmcnt(0)
	v_bcnt_u32_b32 v0, v0, v28
	ds_store_b32 v30, v0
.LBB58_10:                              ;   in Loop: Header=BB58_6 Depth=2
	s_or_b32 exec_lo, exec_lo, s12
	v_lshrrev_b64 v[0:1], s20, v[23:24]
	; wave barrier
	s_delay_alu instid0(VALU_DEP_1)
	v_and_b32_e32 v2, 1, v0
	v_lshlrev_b32_e32 v3, 30, v0
	v_lshlrev_b32_e32 v4, 29, v0
	;; [unrolled: 1-line block ×4, first 2 shown]
	v_add_co_u32 v2, s12, v2, -1
	s_delay_alu instid0(VALU_DEP_1)
	v_cndmask_b32_e64 v6, 0, 1, s12
	v_not_b32_e32 v33, v3
	v_cmp_gt_i32_e64 s12, 0, v3
	v_not_b32_e32 v3, v4
	v_lshlrev_b32_e32 v31, 26, v0
	v_cmp_ne_u32_e32 vcc_lo, 0, v6
	v_ashrrev_i32_e32 v6, 31, v33
	v_lshlrev_b32_e32 v32, 25, v0
	v_ashrrev_i32_e32 v3, 31, v3
	v_and_b32_e32 v1, 0xff, v0
	v_xor_b32_e32 v2, vcc_lo, v2
	v_cmp_gt_i32_e32 vcc_lo, 0, v4
	v_not_b32_e32 v4, v5
	v_xor_b32_e32 v6, s12, v6
	v_cmp_gt_i32_e64 s12, 0, v5
	v_and_b32_e32 v2, exec_lo, v2
	v_not_b32_e32 v5, v7
	v_ashrrev_i32_e32 v4, 31, v4
	v_xor_b32_e32 v3, vcc_lo, v3
	v_cmp_gt_i32_e32 vcc_lo, 0, v7
	v_and_b32_e32 v2, v2, v6
	v_not_b32_e32 v6, v31
	v_ashrrev_i32_e32 v5, 31, v5
	v_xor_b32_e32 v4, s12, v4
	v_lshlrev_b32_e32 v0, 24, v0
	v_and_b32_e32 v2, v2, v3
	v_cmp_gt_i32_e64 s12, 0, v31
	v_not_b32_e32 v3, v32
	v_ashrrev_i32_e32 v6, 31, v6
	v_xor_b32_e32 v5, vcc_lo, v5
	v_and_b32_e32 v2, v2, v4
	v_cmp_gt_i32_e32 vcc_lo, 0, v32
	v_not_b32_e32 v4, v0
	v_ashrrev_i32_e32 v3, 31, v3
	v_xor_b32_e32 v6, s12, v6
	v_and_b32_e32 v2, v2, v5
	v_mul_u32_u24_e32 v1, 10, v1
	v_cmp_gt_i32_e64 s12, 0, v0
	v_ashrrev_i32_e32 v0, 31, v4
	v_xor_b32_e32 v3, vcc_lo, v3
	v_and_b32_e32 v2, v2, v6
	v_add_lshl_u32 v1, v1, v54, 2
	s_delay_alu instid0(VALU_DEP_4) | instskip(NEXT) | instid1(VALU_DEP_3)
	v_xor_b32_e32 v0, s12, v0
	v_and_b32_e32 v2, v2, v3
	ds_load_b32 v31, v1 offset:40
	v_add_nc_u32_e32 v33, 40, v1
	; wave barrier
	v_and_b32_e32 v0, v2, v0
	s_delay_alu instid0(VALU_DEP_1) | instskip(SKIP_1) | instid1(VALU_DEP_2)
	v_mbcnt_lo_u32_b32 v32, v0, 0
	v_cmp_ne_u32_e64 s12, 0, v0
	v_cmp_eq_u32_e32 vcc_lo, 0, v32
	s_delay_alu instid0(VALU_DEP_2) | instskip(NEXT) | instid1(SALU_CYCLE_1)
	s_and_b32 s22, s12, vcc_lo
	s_and_saveexec_b32 s12, s22
	s_cbranch_execz .LBB58_12
; %bb.11:                               ;   in Loop: Header=BB58_6 Depth=2
	s_waitcnt lgkmcnt(0)
	v_bcnt_u32_b32 v0, v0, v31
	ds_store_b32 v33, v0
.LBB58_12:                              ;   in Loop: Header=BB58_6 Depth=2
	s_or_b32 exec_lo, exec_lo, s12
	v_lshrrev_b64 v[0:1], s20, v[10:11]
	; wave barrier
	s_delay_alu instid0(VALU_DEP_1)
	v_and_b32_e32 v2, 1, v0
	v_lshlrev_b32_e32 v3, 30, v0
	v_lshlrev_b32_e32 v4, 29, v0
	;; [unrolled: 1-line block ×4, first 2 shown]
	v_add_co_u32 v2, s12, v2, -1
	s_delay_alu instid0(VALU_DEP_1)
	v_cndmask_b32_e64 v6, 0, 1, s12
	v_not_b32_e32 v66, v3
	v_cmp_gt_i32_e64 s12, 0, v3
	v_not_b32_e32 v3, v4
	v_lshlrev_b32_e32 v34, 26, v0
	v_cmp_ne_u32_e32 vcc_lo, 0, v6
	v_ashrrev_i32_e32 v6, 31, v66
	v_lshlrev_b32_e32 v65, 25, v0
	v_ashrrev_i32_e32 v3, 31, v3
	v_and_b32_e32 v1, 0xff, v0
	v_xor_b32_e32 v2, vcc_lo, v2
	v_cmp_gt_i32_e32 vcc_lo, 0, v4
	v_not_b32_e32 v4, v5
	v_xor_b32_e32 v6, s12, v6
	v_cmp_gt_i32_e64 s12, 0, v5
	v_and_b32_e32 v2, exec_lo, v2
	v_not_b32_e32 v5, v7
	v_ashrrev_i32_e32 v4, 31, v4
	v_xor_b32_e32 v3, vcc_lo, v3
	v_cmp_gt_i32_e32 vcc_lo, 0, v7
	v_and_b32_e32 v2, v2, v6
	v_not_b32_e32 v6, v34
	v_ashrrev_i32_e32 v5, 31, v5
	v_xor_b32_e32 v4, s12, v4
	v_lshlrev_b32_e32 v0, 24, v0
	v_and_b32_e32 v2, v2, v3
	v_cmp_gt_i32_e64 s12, 0, v34
	v_not_b32_e32 v3, v65
	v_ashrrev_i32_e32 v6, 31, v6
	v_xor_b32_e32 v5, vcc_lo, v5
	v_and_b32_e32 v2, v2, v4
	v_cmp_gt_i32_e32 vcc_lo, 0, v65
	v_not_b32_e32 v4, v0
	v_ashrrev_i32_e32 v3, 31, v3
	v_xor_b32_e32 v6, s12, v6
	v_and_b32_e32 v2, v2, v5
	v_mul_u32_u24_e32 v1, 10, v1
	v_cmp_gt_i32_e64 s12, 0, v0
	v_ashrrev_i32_e32 v0, 31, v4
	v_xor_b32_e32 v3, vcc_lo, v3
	v_and_b32_e32 v2, v2, v6
	v_add_lshl_u32 v1, v1, v54, 2
	s_delay_alu instid0(VALU_DEP_4) | instskip(NEXT) | instid1(VALU_DEP_3)
	v_xor_b32_e32 v0, s12, v0
	v_and_b32_e32 v2, v2, v3
	ds_load_b32 v34, v1 offset:40
	v_add_nc_u32_e32 v66, 40, v1
	; wave barrier
	v_and_b32_e32 v0, v2, v0
	s_delay_alu instid0(VALU_DEP_1) | instskip(SKIP_1) | instid1(VALU_DEP_2)
	v_mbcnt_lo_u32_b32 v65, v0, 0
	v_cmp_ne_u32_e64 s12, 0, v0
	v_cmp_eq_u32_e32 vcc_lo, 0, v65
	s_delay_alu instid0(VALU_DEP_2) | instskip(NEXT) | instid1(SALU_CYCLE_1)
	s_and_b32 s22, s12, vcc_lo
	s_and_saveexec_b32 s12, s22
	s_cbranch_execz .LBB58_14
; %bb.13:                               ;   in Loop: Header=BB58_6 Depth=2
	s_waitcnt lgkmcnt(0)
	v_bcnt_u32_b32 v0, v0, v34
	ds_store_b32 v66, v0
.LBB58_14:                              ;   in Loop: Header=BB58_6 Depth=2
	s_or_b32 exec_lo, exec_lo, s12
	v_lshrrev_b64 v[0:1], s20, v[19:20]
	; wave barrier
	s_delay_alu instid0(VALU_DEP_1)
	v_and_b32_e32 v2, 1, v0
	v_lshlrev_b32_e32 v3, 30, v0
	v_lshlrev_b32_e32 v4, 29, v0
	;; [unrolled: 1-line block ×4, first 2 shown]
	v_add_co_u32 v2, s12, v2, -1
	s_delay_alu instid0(VALU_DEP_1)
	v_cndmask_b32_e64 v6, 0, 1, s12
	v_not_b32_e32 v69, v3
	v_cmp_gt_i32_e64 s12, 0, v3
	v_not_b32_e32 v3, v4
	v_lshlrev_b32_e32 v67, 26, v0
	v_cmp_ne_u32_e32 vcc_lo, 0, v6
	v_ashrrev_i32_e32 v6, 31, v69
	v_lshlrev_b32_e32 v68, 25, v0
	v_ashrrev_i32_e32 v3, 31, v3
	v_and_b32_e32 v1, 0xff, v0
	v_xor_b32_e32 v2, vcc_lo, v2
	v_cmp_gt_i32_e32 vcc_lo, 0, v4
	v_not_b32_e32 v4, v5
	v_xor_b32_e32 v6, s12, v6
	v_cmp_gt_i32_e64 s12, 0, v5
	v_and_b32_e32 v2, exec_lo, v2
	v_not_b32_e32 v5, v7
	v_ashrrev_i32_e32 v4, 31, v4
	v_xor_b32_e32 v3, vcc_lo, v3
	v_cmp_gt_i32_e32 vcc_lo, 0, v7
	v_and_b32_e32 v2, v2, v6
	v_not_b32_e32 v6, v67
	v_ashrrev_i32_e32 v5, 31, v5
	v_xor_b32_e32 v4, s12, v4
	v_lshlrev_b32_e32 v0, 24, v0
	v_and_b32_e32 v2, v2, v3
	v_cmp_gt_i32_e64 s12, 0, v67
	v_not_b32_e32 v3, v68
	v_ashrrev_i32_e32 v6, 31, v6
	v_xor_b32_e32 v5, vcc_lo, v5
	v_and_b32_e32 v2, v2, v4
	v_cmp_gt_i32_e32 vcc_lo, 0, v68
	v_not_b32_e32 v4, v0
	v_ashrrev_i32_e32 v3, 31, v3
	v_xor_b32_e32 v6, s12, v6
	v_and_b32_e32 v2, v2, v5
	v_mul_u32_u24_e32 v1, 10, v1
	v_cmp_gt_i32_e64 s12, 0, v0
	v_ashrrev_i32_e32 v0, 31, v4
	v_xor_b32_e32 v3, vcc_lo, v3
	v_and_b32_e32 v2, v2, v6
	v_add_lshl_u32 v1, v1, v54, 2
	s_delay_alu instid0(VALU_DEP_4) | instskip(NEXT) | instid1(VALU_DEP_3)
	v_xor_b32_e32 v0, s12, v0
	v_and_b32_e32 v2, v2, v3
	ds_load_b32 v67, v1 offset:40
	v_add_nc_u32_e32 v69, 40, v1
	; wave barrier
	v_and_b32_e32 v0, v2, v0
	s_delay_alu instid0(VALU_DEP_1) | instskip(SKIP_1) | instid1(VALU_DEP_2)
	v_mbcnt_lo_u32_b32 v68, v0, 0
	v_cmp_ne_u32_e64 s12, 0, v0
	v_cmp_eq_u32_e32 vcc_lo, 0, v68
	s_delay_alu instid0(VALU_DEP_2) | instskip(NEXT) | instid1(SALU_CYCLE_1)
	s_and_b32 s22, s12, vcc_lo
	s_and_saveexec_b32 s12, s22
	s_cbranch_execz .LBB58_16
; %bb.15:                               ;   in Loop: Header=BB58_6 Depth=2
	s_waitcnt lgkmcnt(0)
	v_bcnt_u32_b32 v0, v0, v67
	ds_store_b32 v69, v0
.LBB58_16:                              ;   in Loop: Header=BB58_6 Depth=2
	s_or_b32 exec_lo, exec_lo, s12
	v_lshrrev_b64 v[0:1], s20, v[14:15]
	; wave barrier
	s_delay_alu instid0(VALU_DEP_1)
	v_and_b32_e32 v2, 1, v0
	v_lshlrev_b32_e32 v3, 30, v0
	v_lshlrev_b32_e32 v4, 29, v0
	;; [unrolled: 1-line block ×4, first 2 shown]
	v_add_co_u32 v2, s12, v2, -1
	s_delay_alu instid0(VALU_DEP_1)
	v_cndmask_b32_e64 v6, 0, 1, s12
	v_not_b32_e32 v72, v3
	v_cmp_gt_i32_e64 s12, 0, v3
	v_not_b32_e32 v3, v4
	v_lshlrev_b32_e32 v70, 26, v0
	v_cmp_ne_u32_e32 vcc_lo, 0, v6
	v_ashrrev_i32_e32 v6, 31, v72
	v_lshlrev_b32_e32 v71, 25, v0
	v_ashrrev_i32_e32 v3, 31, v3
	v_and_b32_e32 v1, 0xff, v0
	v_xor_b32_e32 v2, vcc_lo, v2
	v_cmp_gt_i32_e32 vcc_lo, 0, v4
	v_not_b32_e32 v4, v5
	v_xor_b32_e32 v6, s12, v6
	v_cmp_gt_i32_e64 s12, 0, v5
	v_and_b32_e32 v2, exec_lo, v2
	v_not_b32_e32 v5, v7
	v_ashrrev_i32_e32 v4, 31, v4
	v_xor_b32_e32 v3, vcc_lo, v3
	v_cmp_gt_i32_e32 vcc_lo, 0, v7
	v_and_b32_e32 v2, v2, v6
	v_not_b32_e32 v6, v70
	v_ashrrev_i32_e32 v5, 31, v5
	v_xor_b32_e32 v4, s12, v4
	v_lshlrev_b32_e32 v0, 24, v0
	v_and_b32_e32 v2, v2, v3
	v_cmp_gt_i32_e64 s12, 0, v70
	v_not_b32_e32 v3, v71
	v_ashrrev_i32_e32 v6, 31, v6
	v_xor_b32_e32 v5, vcc_lo, v5
	v_and_b32_e32 v2, v2, v4
	v_cmp_gt_i32_e32 vcc_lo, 0, v71
	v_not_b32_e32 v4, v0
	v_ashrrev_i32_e32 v3, 31, v3
	v_xor_b32_e32 v6, s12, v6
	v_and_b32_e32 v2, v2, v5
	v_mul_u32_u24_e32 v1, 10, v1
	v_cmp_gt_i32_e64 s12, 0, v0
	v_ashrrev_i32_e32 v0, 31, v4
	v_xor_b32_e32 v3, vcc_lo, v3
	v_and_b32_e32 v2, v2, v6
	v_add_lshl_u32 v1, v1, v54, 2
	s_delay_alu instid0(VALU_DEP_4) | instskip(NEXT) | instid1(VALU_DEP_3)
	v_xor_b32_e32 v0, s12, v0
	v_and_b32_e32 v2, v2, v3
	ds_load_b32 v70, v1 offset:40
	v_add_nc_u32_e32 v72, 40, v1
	; wave barrier
	v_and_b32_e32 v0, v2, v0
	s_delay_alu instid0(VALU_DEP_1) | instskip(SKIP_1) | instid1(VALU_DEP_2)
	v_mbcnt_lo_u32_b32 v71, v0, 0
	v_cmp_ne_u32_e64 s12, 0, v0
	v_cmp_eq_u32_e32 vcc_lo, 0, v71
	s_delay_alu instid0(VALU_DEP_2) | instskip(NEXT) | instid1(SALU_CYCLE_1)
	s_and_b32 s22, s12, vcc_lo
	s_and_saveexec_b32 s12, s22
	s_cbranch_execz .LBB58_18
; %bb.17:                               ;   in Loop: Header=BB58_6 Depth=2
	s_waitcnt lgkmcnt(0)
	v_bcnt_u32_b32 v0, v0, v70
	ds_store_b32 v72, v0
.LBB58_18:                              ;   in Loop: Header=BB58_6 Depth=2
	s_or_b32 exec_lo, exec_lo, s12
	v_lshrrev_b64 v[0:1], s20, v[12:13]
	; wave barrier
	s_delay_alu instid0(VALU_DEP_1)
	v_and_b32_e32 v2, 1, v0
	v_lshlrev_b32_e32 v3, 30, v0
	v_lshlrev_b32_e32 v4, 29, v0
	v_lshlrev_b32_e32 v5, 28, v0
	v_lshlrev_b32_e32 v7, 27, v0
	v_add_co_u32 v2, s12, v2, -1
	s_delay_alu instid0(VALU_DEP_1)
	v_cndmask_b32_e64 v6, 0, 1, s12
	v_not_b32_e32 v75, v3
	v_cmp_gt_i32_e64 s12, 0, v3
	v_not_b32_e32 v3, v4
	v_lshlrev_b32_e32 v73, 26, v0
	v_cmp_ne_u32_e32 vcc_lo, 0, v6
	v_ashrrev_i32_e32 v6, 31, v75
	v_lshlrev_b32_e32 v74, 25, v0
	v_ashrrev_i32_e32 v3, 31, v3
	v_and_b32_e32 v1, 0xff, v0
	v_xor_b32_e32 v2, vcc_lo, v2
	v_cmp_gt_i32_e32 vcc_lo, 0, v4
	v_not_b32_e32 v4, v5
	v_xor_b32_e32 v6, s12, v6
	v_cmp_gt_i32_e64 s12, 0, v5
	v_and_b32_e32 v2, exec_lo, v2
	v_not_b32_e32 v5, v7
	v_ashrrev_i32_e32 v4, 31, v4
	v_xor_b32_e32 v3, vcc_lo, v3
	v_cmp_gt_i32_e32 vcc_lo, 0, v7
	v_and_b32_e32 v2, v2, v6
	v_not_b32_e32 v6, v73
	v_ashrrev_i32_e32 v5, 31, v5
	v_xor_b32_e32 v4, s12, v4
	v_lshlrev_b32_e32 v0, 24, v0
	v_and_b32_e32 v2, v2, v3
	v_cmp_gt_i32_e64 s12, 0, v73
	v_not_b32_e32 v3, v74
	v_ashrrev_i32_e32 v6, 31, v6
	v_xor_b32_e32 v5, vcc_lo, v5
	v_and_b32_e32 v2, v2, v4
	v_cmp_gt_i32_e32 vcc_lo, 0, v74
	v_not_b32_e32 v4, v0
	v_ashrrev_i32_e32 v3, 31, v3
	v_xor_b32_e32 v6, s12, v6
	v_and_b32_e32 v2, v2, v5
	v_mul_u32_u24_e32 v1, 10, v1
	v_cmp_gt_i32_e64 s12, 0, v0
	v_ashrrev_i32_e32 v0, 31, v4
	v_xor_b32_e32 v3, vcc_lo, v3
	v_and_b32_e32 v2, v2, v6
	v_add_lshl_u32 v1, v1, v54, 2
	s_delay_alu instid0(VALU_DEP_4) | instskip(NEXT) | instid1(VALU_DEP_3)
	v_xor_b32_e32 v0, s12, v0
	v_and_b32_e32 v2, v2, v3
	ds_load_b32 v73, v1 offset:40
	v_add_nc_u32_e32 v75, 40, v1
	; wave barrier
	v_and_b32_e32 v0, v2, v0
	s_delay_alu instid0(VALU_DEP_1) | instskip(SKIP_1) | instid1(VALU_DEP_2)
	v_mbcnt_lo_u32_b32 v74, v0, 0
	v_cmp_ne_u32_e64 s12, 0, v0
	v_cmp_eq_u32_e32 vcc_lo, 0, v74
	s_delay_alu instid0(VALU_DEP_2) | instskip(NEXT) | instid1(SALU_CYCLE_1)
	s_and_b32 s22, s12, vcc_lo
	s_and_saveexec_b32 s12, s22
	s_cbranch_execz .LBB58_20
; %bb.19:                               ;   in Loop: Header=BB58_6 Depth=2
	s_waitcnt lgkmcnt(0)
	v_bcnt_u32_b32 v0, v0, v73
	ds_store_b32 v75, v0
.LBB58_20:                              ;   in Loop: Header=BB58_6 Depth=2
	s_or_b32 exec_lo, exec_lo, s12
	v_lshrrev_b64 v[0:1], s20, v[21:22]
	; wave barrier
	s_delay_alu instid0(VALU_DEP_1)
	v_and_b32_e32 v2, 1, v0
	v_lshlrev_b32_e32 v3, 30, v0
	v_lshlrev_b32_e32 v4, 29, v0
	;; [unrolled: 1-line block ×4, first 2 shown]
	v_add_co_u32 v2, s12, v2, -1
	s_delay_alu instid0(VALU_DEP_1)
	v_cndmask_b32_e64 v6, 0, 1, s12
	v_not_b32_e32 v78, v3
	v_cmp_gt_i32_e64 s12, 0, v3
	v_not_b32_e32 v3, v4
	v_lshlrev_b32_e32 v76, 26, v0
	v_cmp_ne_u32_e32 vcc_lo, 0, v6
	v_ashrrev_i32_e32 v6, 31, v78
	v_lshlrev_b32_e32 v77, 25, v0
	v_ashrrev_i32_e32 v3, 31, v3
	v_and_b32_e32 v1, 0xff, v0
	v_xor_b32_e32 v2, vcc_lo, v2
	v_cmp_gt_i32_e32 vcc_lo, 0, v4
	v_not_b32_e32 v4, v5
	v_xor_b32_e32 v6, s12, v6
	v_cmp_gt_i32_e64 s12, 0, v5
	v_and_b32_e32 v2, exec_lo, v2
	v_not_b32_e32 v5, v7
	v_ashrrev_i32_e32 v4, 31, v4
	v_xor_b32_e32 v3, vcc_lo, v3
	v_cmp_gt_i32_e32 vcc_lo, 0, v7
	v_and_b32_e32 v2, v2, v6
	v_not_b32_e32 v6, v76
	v_ashrrev_i32_e32 v5, 31, v5
	v_xor_b32_e32 v4, s12, v4
	v_lshlrev_b32_e32 v0, 24, v0
	v_and_b32_e32 v2, v2, v3
	v_cmp_gt_i32_e64 s12, 0, v76
	v_not_b32_e32 v3, v77
	v_ashrrev_i32_e32 v6, 31, v6
	v_xor_b32_e32 v5, vcc_lo, v5
	v_and_b32_e32 v2, v2, v4
	v_cmp_gt_i32_e32 vcc_lo, 0, v77
	v_not_b32_e32 v4, v0
	v_ashrrev_i32_e32 v3, 31, v3
	v_xor_b32_e32 v6, s12, v6
	v_and_b32_e32 v2, v2, v5
	v_mul_u32_u24_e32 v1, 10, v1
	v_cmp_gt_i32_e64 s12, 0, v0
	v_ashrrev_i32_e32 v0, 31, v4
	v_xor_b32_e32 v3, vcc_lo, v3
	v_and_b32_e32 v2, v2, v6
	v_add_lshl_u32 v1, v1, v54, 2
	s_delay_alu instid0(VALU_DEP_4) | instskip(NEXT) | instid1(VALU_DEP_3)
	v_xor_b32_e32 v0, s12, v0
	v_and_b32_e32 v2, v2, v3
	ds_load_b32 v76, v1 offset:40
	v_add_nc_u32_e32 v78, 40, v1
	; wave barrier
	v_and_b32_e32 v0, v2, v0
	s_delay_alu instid0(VALU_DEP_1) | instskip(SKIP_1) | instid1(VALU_DEP_2)
	v_mbcnt_lo_u32_b32 v77, v0, 0
	v_cmp_ne_u32_e64 s12, 0, v0
	v_cmp_eq_u32_e32 vcc_lo, 0, v77
	s_delay_alu instid0(VALU_DEP_2) | instskip(NEXT) | instid1(SALU_CYCLE_1)
	s_and_b32 s22, s12, vcc_lo
	s_and_saveexec_b32 s12, s22
	s_cbranch_execz .LBB58_22
; %bb.21:                               ;   in Loop: Header=BB58_6 Depth=2
	s_waitcnt lgkmcnt(0)
	v_bcnt_u32_b32 v0, v0, v76
	ds_store_b32 v78, v0
.LBB58_22:                              ;   in Loop: Header=BB58_6 Depth=2
	s_or_b32 exec_lo, exec_lo, s12
	; wave barrier
	s_waitcnt lgkmcnt(0)
	s_barrier
	buffer_gl0_inv
	ds_load_2addr_b64 v[4:7], v45 offset0:5 offset1:6
	ds_load_2addr_b64 v[0:3], v47 offset0:2 offset1:3
	s_waitcnt lgkmcnt(1)
	v_add_nc_u32_e32 v79, v5, v4
	s_delay_alu instid0(VALU_DEP_1) | instskip(SKIP_1) | instid1(VALU_DEP_1)
	v_add3_u32 v79, v79, v6, v7
	s_waitcnt lgkmcnt(0)
	v_add3_u32 v79, v79, v0, v1
	s_delay_alu instid0(VALU_DEP_1) | instskip(NEXT) | instid1(VALU_DEP_1)
	v_add3_u32 v3, v79, v2, v3
	v_mov_b32_dpp v79, v3 row_shr:1 row_mask:0xf bank_mask:0xf
	s_delay_alu instid0(VALU_DEP_1) | instskip(NEXT) | instid1(VALU_DEP_1)
	v_cndmask_b32_e64 v79, v79, 0, s1
	v_add_nc_u32_e32 v3, v79, v3
	s_delay_alu instid0(VALU_DEP_1) | instskip(NEXT) | instid1(VALU_DEP_1)
	v_mov_b32_dpp v79, v3 row_shr:2 row_mask:0xf bank_mask:0xf
	v_cndmask_b32_e64 v79, 0, v79, s2
	s_delay_alu instid0(VALU_DEP_1) | instskip(NEXT) | instid1(VALU_DEP_1)
	v_add_nc_u32_e32 v3, v3, v79
	v_mov_b32_dpp v79, v3 row_shr:4 row_mask:0xf bank_mask:0xf
	s_delay_alu instid0(VALU_DEP_1) | instskip(NEXT) | instid1(VALU_DEP_1)
	v_cndmask_b32_e64 v79, 0, v79, s3
	v_add_nc_u32_e32 v3, v3, v79
	s_delay_alu instid0(VALU_DEP_1) | instskip(NEXT) | instid1(VALU_DEP_1)
	v_mov_b32_dpp v79, v3 row_shr:8 row_mask:0xf bank_mask:0xf
	v_cndmask_b32_e64 v79, 0, v79, s4
	s_delay_alu instid0(VALU_DEP_1) | instskip(SKIP_3) | instid1(VALU_DEP_1)
	v_add_nc_u32_e32 v3, v3, v79
	ds_swizzle_b32 v79, v3 offset:swizzle(BROADCAST,32,15)
	s_waitcnt lgkmcnt(0)
	v_cndmask_b32_e64 v79, v79, 0, s5
	v_add_nc_u32_e32 v3, v3, v79
	s_and_saveexec_b32 s12, s6
	s_cbranch_execz .LBB58_24
; %bb.23:                               ;   in Loop: Header=BB58_6 Depth=2
	ds_store_b32 v58, v3
.LBB58_24:                              ;   in Loop: Header=BB58_6 Depth=2
	s_or_b32 exec_lo, exec_lo, s12
	s_waitcnt lgkmcnt(0)
	s_barrier
	buffer_gl0_inv
	s_and_saveexec_b32 s12, s7
	s_cbranch_execz .LBB58_26
; %bb.25:                               ;   in Loop: Header=BB58_6 Depth=2
	ds_load_b32 v79, v57
	s_waitcnt lgkmcnt(0)
	v_mov_b32_dpp v80, v79 row_shr:1 row_mask:0xf bank_mask:0xf
	s_delay_alu instid0(VALU_DEP_1) | instskip(NEXT) | instid1(VALU_DEP_1)
	v_cndmask_b32_e64 v80, v80, 0, s1
	v_add_nc_u32_e32 v79, v80, v79
	s_delay_alu instid0(VALU_DEP_1) | instskip(NEXT) | instid1(VALU_DEP_1)
	v_mov_b32_dpp v80, v79 row_shr:2 row_mask:0xf bank_mask:0xf
	v_cndmask_b32_e64 v80, 0, v80, s2
	s_delay_alu instid0(VALU_DEP_1) | instskip(NEXT) | instid1(VALU_DEP_1)
	v_add_nc_u32_e32 v79, v79, v80
	v_mov_b32_dpp v80, v79 row_shr:4 row_mask:0xf bank_mask:0xf
	s_delay_alu instid0(VALU_DEP_1) | instskip(NEXT) | instid1(VALU_DEP_1)
	v_cndmask_b32_e64 v80, 0, v80, s3
	v_add_nc_u32_e32 v79, v79, v80
	s_delay_alu instid0(VALU_DEP_1) | instskip(NEXT) | instid1(VALU_DEP_1)
	v_mov_b32_dpp v80, v79 row_shr:8 row_mask:0xf bank_mask:0xf
	v_cndmask_b32_e64 v80, 0, v80, s4
	s_delay_alu instid0(VALU_DEP_1)
	v_add_nc_u32_e32 v79, v79, v80
	ds_store_b32 v57, v79
.LBB58_26:                              ;   in Loop: Header=BB58_6 Depth=2
	s_or_b32 exec_lo, exec_lo, s12
	v_mov_b32_e32 v79, 0
	s_waitcnt lgkmcnt(0)
	s_barrier
	buffer_gl0_inv
	s_and_saveexec_b32 s12, s8
	s_cbranch_execz .LBB58_28
; %bb.27:                               ;   in Loop: Header=BB58_6 Depth=2
	ds_load_b32 v79, v60
.LBB58_28:                              ;   in Loop: Header=BB58_6 Depth=2
	s_or_b32 exec_lo, exec_lo, s12
	s_waitcnt lgkmcnt(0)
	v_add_nc_u32_e32 v3, v79, v3
	s_cmp_gt_u32 s20, 55
	ds_bpermute_b32 v3, v55, v3
	s_waitcnt lgkmcnt(0)
	v_cndmask_b32_e64 v3, v3, v79, s9
	s_delay_alu instid0(VALU_DEP_1) | instskip(NEXT) | instid1(VALU_DEP_1)
	v_cndmask_b32_e64 v3, v3, 0, s10
	v_add_nc_u32_e32 v4, v3, v4
	s_delay_alu instid0(VALU_DEP_1) | instskip(NEXT) | instid1(VALU_DEP_1)
	v_add_nc_u32_e32 v5, v4, v5
	v_add_nc_u32_e32 v6, v5, v6
	s_delay_alu instid0(VALU_DEP_1) | instskip(NEXT) | instid1(VALU_DEP_1)
	v_add_nc_u32_e32 v79, v6, v7
	;; [unrolled: 3-line block ×3, first 2 shown]
	v_add_nc_u32_e32 v1, v0, v2
	ds_store_2addr_b64 v45, v[3:4], v[5:6] offset0:5 offset1:6
	ds_store_2addr_b64 v47, v[79:80], v[0:1] offset0:2 offset1:3
	s_waitcnt lgkmcnt(0)
	s_barrier
	buffer_gl0_inv
	ds_load_b32 v0, v27
	ds_load_b32 v1, v30
	;; [unrolled: 1-line block ×8, first 2 shown]
	s_waitcnt lgkmcnt(7)
	v_add_nc_u32_e32 v69, v0, v16
	s_waitcnt lgkmcnt(6)
	v_add3_u32 v72, v29, v28, v1
	s_waitcnt lgkmcnt(5)
	v_add3_u32 v75, v32, v31, v2
	;; [unrolled: 2-line block ×7, first 2 shown]
	s_cbranch_scc0 .LBB58_5
; %bb.29:                               ;   in Loop: Header=BB58_2 Depth=1
                                        ; implicit-def: $vgpr33_vgpr34
                                        ; implicit-def: $vgpr0_vgpr1
                                        ; implicit-def: $vgpr2_vgpr3
                                        ; implicit-def: $vgpr6_vgpr7
                                        ; implicit-def: $vgpr4_vgpr5
                                        ; implicit-def: $vgpr27_vgpr28
                                        ; implicit-def: $vgpr31_vgpr32
                                        ; implicit-def: $vgpr29_vgpr30
                                        ; implicit-def: $sgpr20_sgpr21
.LBB58_30:                              ;   in Loop: Header=BB58_2 Depth=1
	v_lshrrev_b32_e32 v0, 2, v69
	v_lshrrev_b32_e32 v1, 2, v72
	;; [unrolled: 1-line block ×4, first 2 shown]
	s_delay_alu instid0(VALU_DEP_4) | instskip(NEXT) | instid1(VALU_DEP_4)
	v_and_b32_e32 v0, 0x3ffffff8, v0
	v_and_b32_e32 v1, 0x3ffffff8, v1
	s_delay_alu instid0(VALU_DEP_4)
	v_and_b32_e32 v2, 0x3ffffff8, v2
	s_barrier
	buffer_gl0_inv
	v_lshl_add_u32 v0, v69, 3, v0
	v_lshl_add_u32 v1, v72, 3, v1
	;; [unrolled: 1-line block ×3, first 2 shown]
	v_lshrrev_b32_e32 v4, 2, v68
	v_and_b32_e32 v3, 0x3ffffff8, v3
	ds_store_b64 v0, v[8:9]
	ds_store_b64 v1, v[25:26]
	;; [unrolled: 1-line block ×3, first 2 shown]
	v_lshrrev_b32_e32 v0, 2, v65
	v_lshrrev_b32_e32 v1, 2, v66
	;; [unrolled: 1-line block ×3, first 2 shown]
	v_and_b32_e32 v4, 0x3ffffff8, v4
	v_lshl_add_u32 v3, v16, 3, v3
	v_and_b32_e32 v0, 0x3ffffff8, v0
	v_and_b32_e32 v1, 0x3ffffff8, v1
	;; [unrolled: 1-line block ×3, first 2 shown]
	v_lshl_add_u32 v4, v68, 3, v4
	s_delay_alu instid0(VALU_DEP_4) | instskip(NEXT) | instid1(VALU_DEP_4)
	v_lshl_add_u32 v0, v65, 3, v0
	v_lshl_add_u32 v1, v66, 3, v1
	s_delay_alu instid0(VALU_DEP_4)
	v_lshl_add_u32 v2, v67, 3, v2
	ds_store_b64 v3, v[10:11]
	ds_store_b64 v0, v[19:20]
	;; [unrolled: 1-line block ×5, first 2 shown]
	s_waitcnt lgkmcnt(0)
	s_barrier
	buffer_gl0_inv
	ds_load_2addr_b64 v[13:16], v61 offset1:1
	ds_load_2addr_b64 v[9:12], v61 offset0:2 offset1:3
	ds_load_2addr_b64 v[5:8], v61 offset0:4 offset1:5
	;; [unrolled: 1-line block ×3, first 2 shown]
	s_waitcnt lgkmcnt(0)
	s_barrier
	buffer_gl0_inv
	s_and_saveexec_b32 s12, s0
	s_cbranch_execz .LBB58_32
; %bb.31:                               ;   in Loop: Header=BB58_2 Depth=1
	ds_store_2addr_stride64_b32 v64, v63, v63 offset0:20 offset1:25
.LBB58_32:                              ;   in Loop: Header=BB58_2 Depth=1
	s_or_b32 exec_lo, exec_lo, s12
	v_lshlrev_b32_e32 v19, 2, v1
	s_mov_b32 s12, exec_lo
	s_waitcnt lgkmcnt(0)
	s_barrier
	buffer_gl0_inv
	ds_store_b64 v59, v[3:4]
	v_cmpx_ne_u32_e64 v1, v3
	s_cbranch_execz .LBB58_34
; %bb.33:                               ;   in Loop: Header=BB58_2 Depth=1
	v_lshlrev_b32_e32 v0, 2, v3
	ds_store_b32 v0, v53 offset:5120
	ds_store_b32 v19, v53 offset:6400
.LBB58_34:                              ;   in Loop: Header=BB58_2 Depth=1
	s_or_b32 exec_lo, exec_lo, s12
	v_lshlrev_b32_e32 v20, 2, v7
	v_mov_b32_e32 v0, v1
	s_mov_b32 s12, exec_lo
	v_cmpx_ne_u32_e64 v1, v7
	s_cbranch_execz .LBB58_36
; %bb.35:                               ;   in Loop: Header=BB58_2 Depth=1
	v_mov_b32_e32 v0, v7
	ds_store_b32 v19, v52 offset:5120
	ds_store_b32 v20, v52 offset:6400
.LBB58_36:                              ;   in Loop: Header=BB58_2 Depth=1
	s_or_b32 exec_lo, exec_lo, s12
	v_lshlrev_b32_e32 v19, 2, v5
	s_mov_b32 s12, exec_lo
	v_cmpx_ne_u32_e64 v0, v5
	s_cbranch_execz .LBB58_38
; %bb.37:                               ;   in Loop: Header=BB58_2 Depth=1
	v_mov_b32_e32 v0, v5
	ds_store_b32 v20, v51 offset:5120
	ds_store_b32 v19, v51 offset:6400
.LBB58_38:                              ;   in Loop: Header=BB58_2 Depth=1
	s_or_b32 exec_lo, exec_lo, s12
	v_lshlrev_b32_e32 v20, 2, v11
	;; [unrolled: 10-line block ×4, first 2 shown]
	s_mov_b32 s12, exec_lo
	v_cmpx_ne_u32_e64 v0, v15
	s_cbranch_execz .LBB58_44
; %bb.43:                               ;   in Loop: Header=BB58_2 Depth=1
	v_mov_b32_e32 v0, v15
	ds_store_b32 v19, v48 offset:5120
	ds_store_b32 v20, v48 offset:6400
.LBB58_44:                              ;   in Loop: Header=BB58_2 Depth=1
	s_or_b32 exec_lo, exec_lo, s12
	v_cmp_ne_u32_e32 vcc_lo, v0, v13
	v_lshlrev_b32_e32 v0, 2, v13
	s_and_saveexec_b32 s12, vcc_lo
	s_cbranch_execz .LBB58_46
; %bb.45:                               ;   in Loop: Header=BB58_2 Depth=1
	ds_store_b32 v20, v46 offset:5120
	ds_store_b32 v0, v46 offset:6400
.LBB58_46:                              ;   in Loop: Header=BB58_2 Depth=1
	s_or_b32 exec_lo, exec_lo, s12
	s_waitcnt lgkmcnt(0)
	s_barrier
	buffer_gl0_inv
	s_and_saveexec_b32 s12, s11
	s_cbranch_execz .LBB58_49
; %bb.47:                               ;   in Loop: Header=BB58_2 Depth=1
	ds_load_b32 v19, v62
	s_waitcnt lgkmcnt(0)
	v_cmp_ne_u32_e32 vcc_lo, v19, v13
	s_and_b32 exec_lo, exec_lo, vcc_lo
	s_cbranch_execz .LBB58_49
; %bb.48:                               ;   in Loop: Header=BB58_2 Depth=1
	ds_store_b32 v0, v35 offset:5120
	ds_load_b32 v19, v62
	s_waitcnt lgkmcnt(0)
	v_lshlrev_b32_e32 v19, 2, v19
	ds_store_b32 v19, v35 offset:6400
.LBB58_49:                              ;   in Loop: Header=BB58_2 Depth=1
	s_or_b32 exec_lo, exec_lo, s12
	s_waitcnt lgkmcnt(0)
	s_barrier
	buffer_gl0_inv
	s_and_saveexec_b32 s12, s10
	s_cbranch_execz .LBB58_51
; %bb.50:                               ;   in Loop: Header=BB58_2 Depth=1
	ds_store_b32 v0, v18 offset:5120
.LBB58_51:                              ;   in Loop: Header=BB58_2 Depth=1
	s_or_b32 exec_lo, exec_lo, s12
	s_waitcnt lgkmcnt(0)
	s_barrier
	buffer_gl0_inv
	s_and_saveexec_b32 s12, s0
	s_cbranch_execz .LBB58_1
; %bb.52:                               ;   in Loop: Header=BB58_2 Depth=1
	ds_load_2addr_stride64_b32 v[19:20], v64 offset0:20 offset1:25
	ds_load_b64 v[21:22], v56
	s_waitcnt lgkmcnt(1)
	v_sub_nc_u32_e32 v0, v20, v19
	s_waitcnt lgkmcnt(0)
	s_delay_alu instid0(VALU_DEP_1)
	v_add_co_u32 v19, vcc_lo, v21, v0
	v_add_co_ci_u32_e32 v20, vcc_lo, 0, v22, vcc_lo
	ds_store_b64 v56, v[19:20]
	s_branch .LBB58_1
.LBB58_53:
	s_and_saveexec_b32 s1, s0
	s_cbranch_execz .LBB58_55
; %bb.54:
	ds_load_b64 v[0:1], v56
	v_mov_b32_e32 v18, 0
	s_delay_alu instid0(VALU_DEP_1) | instskip(NEXT) | instid1(VALU_DEP_1)
	v_lshlrev_b64 v[2:3], 3, v[17:18]
	v_add_co_u32 v2, vcc_lo, s18, v2
	s_delay_alu instid0(VALU_DEP_2)
	v_add_co_ci_u32_e32 v3, vcc_lo, s19, v3, vcc_lo
	s_waitcnt lgkmcnt(0)
	global_store_b64 v[2:3], v[0:1], off
.LBB58_55:
	s_nop 0
	s_sendmsg sendmsg(MSG_DEALLOC_VGPRS)
	s_endpgm
	.section	.rodata,"a",@progbits
	.p2align	6, 0x0
	.amdhsa_kernel _Z6kernelI9histogramILN6hipcub23BlockHistogramAlgorithmE1EEyLj320ELj8ELj320ELj100EEvPKT0_PS4_
		.amdhsa_group_segment_fixed_size 23680
		.amdhsa_private_segment_fixed_size 0
		.amdhsa_kernarg_size 272
		.amdhsa_user_sgpr_count 15
		.amdhsa_user_sgpr_dispatch_ptr 0
		.amdhsa_user_sgpr_queue_ptr 0
		.amdhsa_user_sgpr_kernarg_segment_ptr 1
		.amdhsa_user_sgpr_dispatch_id 0
		.amdhsa_user_sgpr_private_segment_size 0
		.amdhsa_wavefront_size32 1
		.amdhsa_uses_dynamic_stack 0
		.amdhsa_enable_private_segment 0
		.amdhsa_system_sgpr_workgroup_id_x 1
		.amdhsa_system_sgpr_workgroup_id_y 0
		.amdhsa_system_sgpr_workgroup_id_z 0
		.amdhsa_system_sgpr_workgroup_info 0
		.amdhsa_system_vgpr_workitem_id 2
		.amdhsa_next_free_vgpr 81
		.amdhsa_next_free_sgpr 23
		.amdhsa_reserve_vcc 1
		.amdhsa_float_round_mode_32 0
		.amdhsa_float_round_mode_16_64 0
		.amdhsa_float_denorm_mode_32 3
		.amdhsa_float_denorm_mode_16_64 3
		.amdhsa_dx10_clamp 1
		.amdhsa_ieee_mode 1
		.amdhsa_fp16_overflow 0
		.amdhsa_workgroup_processor_mode 1
		.amdhsa_memory_ordered 1
		.amdhsa_forward_progress 0
		.amdhsa_shared_vgpr_count 0
		.amdhsa_exception_fp_ieee_invalid_op 0
		.amdhsa_exception_fp_denorm_src 0
		.amdhsa_exception_fp_ieee_div_zero 0
		.amdhsa_exception_fp_ieee_overflow 0
		.amdhsa_exception_fp_ieee_underflow 0
		.amdhsa_exception_fp_ieee_inexact 0
		.amdhsa_exception_int_div_zero 0
	.end_amdhsa_kernel
	.section	.text._Z6kernelI9histogramILN6hipcub23BlockHistogramAlgorithmE1EEyLj320ELj8ELj320ELj100EEvPKT0_PS4_,"axG",@progbits,_Z6kernelI9histogramILN6hipcub23BlockHistogramAlgorithmE1EEyLj320ELj8ELj320ELj100EEvPKT0_PS4_,comdat
.Lfunc_end58:
	.size	_Z6kernelI9histogramILN6hipcub23BlockHistogramAlgorithmE1EEyLj320ELj8ELj320ELj100EEvPKT0_PS4_, .Lfunc_end58-_Z6kernelI9histogramILN6hipcub23BlockHistogramAlgorithmE1EEyLj320ELj8ELj320ELj100EEvPKT0_PS4_
                                        ; -- End function
	.section	.AMDGPU.csdata,"",@progbits
; Kernel info:
; codeLenInByte = 5556
; NumSgprs: 25
; NumVgprs: 81
; ScratchSize: 0
; MemoryBound: 0
; FloatMode: 240
; IeeeMode: 1
; LDSByteSize: 23680 bytes/workgroup (compile time only)
; SGPRBlocks: 3
; VGPRBlocks: 10
; NumSGPRsForWavesPerEU: 25
; NumVGPRsForWavesPerEU: 81
; Occupancy: 13
; WaveLimiterHint : 0
; COMPUTE_PGM_RSRC2:SCRATCH_EN: 0
; COMPUTE_PGM_RSRC2:USER_SGPR: 15
; COMPUTE_PGM_RSRC2:TRAP_HANDLER: 0
; COMPUTE_PGM_RSRC2:TGID_X_EN: 1
; COMPUTE_PGM_RSRC2:TGID_Y_EN: 0
; COMPUTE_PGM_RSRC2:TGID_Z_EN: 0
; COMPUTE_PGM_RSRC2:TIDIG_COMP_CNT: 2
	.section	.text._Z6kernelI9histogramILN6hipcub23BlockHistogramAlgorithmE1EEyLj320ELj16ELj320ELj100EEvPKT0_PS4_,"axG",@progbits,_Z6kernelI9histogramILN6hipcub23BlockHistogramAlgorithmE1EEyLj320ELj16ELj320ELj100EEvPKT0_PS4_,comdat
	.protected	_Z6kernelI9histogramILN6hipcub23BlockHistogramAlgorithmE1EEyLj320ELj16ELj320ELj100EEvPKT0_PS4_ ; -- Begin function _Z6kernelI9histogramILN6hipcub23BlockHistogramAlgorithmE1EEyLj320ELj16ELj320ELj100EEvPKT0_PS4_
	.globl	_Z6kernelI9histogramILN6hipcub23BlockHistogramAlgorithmE1EEyLj320ELj16ELj320ELj100EEvPKT0_PS4_
	.p2align	8
	.type	_Z6kernelI9histogramILN6hipcub23BlockHistogramAlgorithmE1EEyLj320ELj16ELj320ELj100EEvPKT0_PS4_,@function
_Z6kernelI9histogramILN6hipcub23BlockHistogramAlgorithmE1EEyLj320ELj16ELj320ELj100EEvPKT0_PS4_: ; @_Z6kernelI9histogramILN6hipcub23BlockHistogramAlgorithmE1EEyLj320ELj16ELj320ELj100EEvPKT0_PS4_
; %bb.0:
	v_and_b32_e32 v35, 0x3ff, v0
	s_clause 0x1
	s_load_b128 s[16:19], s[0:1], 0x0
	s_load_b32 s1, s[0:1], 0x1c
	v_mbcnt_lo_u32_b32 v38, -1, 0
	s_mov_b32 s14, 0
	v_mad_u64_u32 v[33:34], null, 0x140, s15, v[35:36]
	v_dual_mov_b32 v34, 0 :: v_dual_and_b32 v39, 0x1e0, v35
	v_lshlrev_b32_e32 v67, 4, v35
	v_cmp_gt_u32_e64 s0, 0x140, v35
	s_delay_alu instid0(VALU_DEP_3) | instskip(SKIP_4) | instid1(VALU_DEP_4)
	v_dual_mov_b32 v2, v34 :: v_dual_lshlrev_b32 v83, 5, v35
	v_lshlrev_b32_e32 v1, 4, v33
	v_or_b32_e32 v36, v38, v39
	v_and_b32_e32 v37, 0x1e00, v67
	v_dual_mov_b32 v111, 0x1400 :: v_dual_lshlrev_b32 v86, 3, v35
	v_lshlrev_b64 v[1:2], 3, v[1:2]
	s_delay_alu instid0(VALU_DEP_4) | instskip(NEXT) | instid1(VALU_DEP_4)
	v_lshlrev_b32_e32 v40, 2, v36
	v_or_b32_e32 v41, 32, v37
	v_or_b32_e32 v42, 64, v37
	;; [unrolled: 1-line block ×3, first 2 shown]
	v_lshrrev_b32_e32 v44, 5, v37
	s_waitcnt lgkmcnt(0)
	v_add_co_u32 v29, vcc_lo, s16, v1
	v_add_co_ci_u32_e32 v30, vcc_lo, s17, v2, vcc_lo
	v_and_b32_e32 v40, 0x7f8, v40
	v_lshrrev_b32_e32 v41, 5, v41
	v_lshrrev_b32_e32 v42, 5, v42
	s_clause 0x7
	global_load_b128 v[1:4], v[29:30], off offset:48
	global_load_b128 v[9:12], v[29:30], off offset:32
	;; [unrolled: 1-line block ×3, first 2 shown]
	global_load_b128 v[25:28], v[29:30], off
	global_load_b128 v[5:8], v[29:30], off offset:112
	global_load_b128 v[13:16], v[29:30], off offset:96
	;; [unrolled: 1-line block ×4, first 2 shown]
	v_add_lshl_u32 v69, v44, v43, 3
	v_lshl_add_u32 v68, v36, 7, v40
	v_or_b32_e32 v40, 0x80, v37
	v_add_lshl_u32 v70, v41, v43, 3
	v_or_b32_e32 v36, 0x60, v37
	v_or_b32_e32 v41, 0xa0, v37
	v_add_lshl_u32 v71, v42, v43, 3
	v_lshrrev_b32_e32 v40, 5, v40
	v_or_b32_e32 v42, 0xc0, v37
	v_lshrrev_b32_e32 v36, 5, v36
	v_lshrrev_b32_e32 v41, 5, v41
	v_or_b32_e32 v44, 0xe0, v37
	v_add_lshl_u32 v73, v40, v43, 3
	v_or_b32_e32 v40, 0x120, v37
	v_lshrrev_b32_e32 v42, 5, v42
	v_add_lshl_u32 v72, v36, v43, 3
	v_add_lshl_u32 v74, v41, v43, 3
	v_or_b32_e32 v36, 0x100, v37
	v_or_b32_e32 v41, 0x140, v37
	v_lshrrev_b32_e32 v40, 5, v40
	v_lshrrev_b32_e32 v44, 5, v44
	v_add_lshl_u32 v75, v42, v43, 3
	v_or_b32_e32 v42, 0x160, v37
	v_lshrrev_b32_e32 v36, 5, v36
	v_lshrrev_b32_e32 v41, 5, v41
	v_add_lshl_u32 v78, v40, v43, 3
	v_bfe_u32 v40, v0, 10, 10
	v_bfe_u32 v0, v0, 20, 10
	s_lshr_b32 s2, s1, 16
	v_add_lshl_u32 v76, v44, v43, 3
	v_or_b32_e32 v44, 0x180, v37
	v_lshrrev_b32_e32 v42, 5, v42
	v_add_lshl_u32 v77, v36, v43, 3
	v_add_lshl_u32 v79, v41, v43, 3
	v_or_b32_e32 v36, 0x1a0, v37
	v_or_b32_e32 v41, 0x1c0, v37
	;; [unrolled: 1-line block ×3, first 2 shown]
	v_mad_u32_u24 v0, v0, s2, v40
	s_and_b32 s1, s1, 0xffff
	v_add_lshl_u32 v80, v42, v43, 3
	v_lshrrev_b32_e32 v42, 5, v36
	v_lshrrev_b32_e32 v40, 5, v41
	;; [unrolled: 1-line block ×3, first 2 shown]
	v_mad_u64_u32 v[36:37], null, v0, s1, v[35:36]
	v_and_b32_e32 v0, 15, v38
	v_lshrrev_b32_e32 v44, 5, v44
	v_and_b32_e32 v37, 16, v38
	v_cmp_gt_u32_e64 s7, 10, v35
	v_cmp_lt_u32_e64 s8, 31, v35
	v_cmp_eq_u32_e64 s1, 0, v0
	v_lshrrev_b32_e32 v88, 5, v36
	v_min_u32_e32 v36, 0x120, v39
	v_add_nc_u32_e32 v39, -1, v38
	v_cmp_lt_u32_e64 s2, 1, v0
	v_cmp_lt_u32_e64 s3, 3, v0
	;; [unrolled: 1-line block ×3, first 2 shown]
	v_or_b32_e32 v36, 31, v36
	v_cmp_gt_i32_e32 vcc_lo, 0, v39
	v_cmp_eq_u32_e64 s10, 0, v35
	v_cmp_ne_u32_e64 s11, 0, v35
	v_add_lshl_u32 v81, v44, v43, 3
	v_cmp_eq_u32_e64 s6, v36, v35
	v_cndmask_b32_e32 v0, v39, v38, vcc_lo
	v_lshrrev_b32_e32 v36, 3, v35
	v_add_lshl_u32 v82, v42, v43, 3
	v_add_lshl_u32 v84, v40, v43, 3
	;; [unrolled: 1-line block ×3, first 2 shown]
	v_lshlrev_b32_e32 v90, 2, v0
	v_and_b32_e32 v91, 60, v36
	v_lshrrev_b32_e32 v0, 1, v35
	v_lshlrev_b32_e32 v36, 2, v35
	v_mul_i32_i24_e32 v35, 0xffffffe4, v35
	v_add_nc_u32_e32 v87, 40, v83
	v_cmp_eq_u32_e64 s5, 0, v37
	v_add_lshl_u32 v93, v0, v67, 3
	v_sub_nc_u32_e32 v0, 0, v36
	v_cmp_eq_u32_e64 s9, 0, v38
	v_add_nc_u32_e32 v92, -4, v91
	v_add_nc_u32_e32 v89, 0xa500, v86
	v_or_b32_e32 v94, 15, v67
	v_or_b32_e32 v95, 14, v67
	;; [unrolled: 1-line block ×15, first 2 shown]
	v_add_nc_u32_e32 v109, -8, v86
	v_add_nc_u32_e32 v110, v83, v35
	v_add_nc_u32_e32 v112, v86, v0
	s_mov_b32 s15, s14
	s_mov_b32 s16, s14
	s_mov_b32 s17, s14
	s_mov_b32 s13, s14
	s_branch .LBB59_2
.LBB59_1:                               ;   in Loop: Header=BB59_2 Depth=1
	s_or_b32 exec_lo, exec_lo, s12
	s_add_i32 s13, s13, 1
	s_delay_alu instid0(SALU_CYCLE_1)
	s_cmpk_lg_i32 s13, 0x64
	s_cbranch_scc0 .LBB59_85
.LBB59_2:                               ; =>This Loop Header: Depth=1
                                        ;     Child Loop BB59_6 Depth 2
	s_and_saveexec_b32 s12, s0
	s_cbranch_execz .LBB59_4
; %bb.3:                                ;   in Loop: Header=BB59_2 Depth=1
	v_mov_b32_e32 v35, v34
	ds_store_b64 v89, v[34:35]
.LBB59_4:                               ;   in Loop: Header=BB59_2 Depth=1
	s_or_b32 exec_lo, exec_lo, s12
	s_waitcnt vmcnt(0) lgkmcnt(0)
	s_barrier
	buffer_gl0_inv
	ds_store_2addr_b64 v68, v[25:26], v[27:28] offset1:1
	ds_store_2addr_b64 v68, v[17:18], v[19:20] offset0:2 offset1:3
	ds_store_2addr_b64 v68, v[9:10], v[11:12] offset0:4 offset1:5
	;; [unrolled: 1-line block ×7, first 2 shown]
	; wave barrier
	ds_load_b64 v[51:52], v69
	ds_load_b64 v[53:54], v70 offset:256
	ds_load_b64 v[55:56], v71 offset:512
	;; [unrolled: 1-line block ×15, first 2 shown]
	s_mov_b64 s[20:21], 0
	s_waitcnt lgkmcnt(0)
	s_barrier
	buffer_gl0_inv
	; wave barrier
	s_barrier
	s_branch .LBB59_6
.LBB59_5:                               ;   in Loop: Header=BB59_6 Depth=2
	v_lshrrev_b32_e32 v0, 2, v136
	v_lshrrev_b32_e32 v1, 2, v131
	;; [unrolled: 1-line block ×5, first 2 shown]
	v_and_b32_e32 v0, 0x3ffffff8, v0
	v_lshrrev_b32_e32 v5, 2, v135
	v_and_b32_e32 v1, 0x3ffffff8, v1
	v_and_b32_e32 v2, 0x3ffffff8, v2
	v_and_b32_e32 v3, 0x3ffffff8, v3
	v_lshl_add_u32 v0, v136, 3, v0
	v_and_b32_e32 v4, 0x3ffffff8, v4
	s_barrier
	buffer_gl0_inv
	ds_store_b64 v0, v[22:23]
	v_and_b32_e32 v0, 0x3ffffff8, v5
	v_lshl_add_u32 v1, v131, 3, v1
	v_lshl_add_u32 v2, v132, 3, v2
	;; [unrolled: 1-line block ×5, first 2 shown]
	ds_store_b64 v1, v[14:15]
	ds_store_b64 v2, v[12:13]
	;; [unrolled: 1-line block ×5, first 2 shown]
	v_lshrrev_b32_e32 v0, 2, v119
	v_lshrrev_b32_e32 v1, 2, v122
	;; [unrolled: 1-line block ×5, first 2 shown]
	v_and_b32_e32 v0, 0x3ffffff8, v0
	v_and_b32_e32 v1, 0x3ffffff8, v1
	;; [unrolled: 1-line block ×5, first 2 shown]
	v_lshl_add_u32 v0, v119, 3, v0
	v_lshl_add_u32 v1, v122, 3, v1
	;; [unrolled: 1-line block ×5, first 2 shown]
	ds_store_b64 v0, v[10:11]
	ds_store_b64 v1, v[8:9]
	;; [unrolled: 1-line block ×5, first 2 shown]
	v_lshrrev_b32_e32 v0, 2, v32
	v_lshrrev_b32_e32 v1, 2, v113
	;; [unrolled: 1-line block ×5, first 2 shown]
	v_and_b32_e32 v0, 0x3ffffff8, v0
	v_and_b32_e32 v1, 0x3ffffff8, v1
	;; [unrolled: 1-line block ×5, first 2 shown]
	v_lshl_add_u32 v0, v32, 3, v0
	v_lshl_add_u32 v1, v113, 3, v1
	;; [unrolled: 1-line block ×5, first 2 shown]
	ds_store_b64 v0, v[24:25]
	ds_store_b64 v1, v[30:31]
	;; [unrolled: 1-line block ×5, first 2 shown]
	s_waitcnt lgkmcnt(0)
	s_barrier
	buffer_gl0_inv
	ds_load_b64 v[51:52], v69
	ds_load_b64 v[53:54], v70 offset:256
	ds_load_b64 v[55:56], v71 offset:512
	;; [unrolled: 1-line block ×15, first 2 shown]
	s_add_u32 s20, s20, 8
	s_addc_u32 s21, s21, 0
	s_waitcnt lgkmcnt(0)
	s_barrier
	s_cbranch_execz .LBB59_46
.LBB59_6:                               ;   Parent Loop BB59_2 Depth=1
                                        ; =>  This Inner Loop Header: Depth=2
	v_dual_mov_b32 v22, v51 :: v_dual_mov_b32 v23, v52
	buffer_gl0_inv
	v_dual_mov_b32 v14, v53 :: v_dual_mov_b32 v15, v54
	v_dual_mov_b32 v12, v55 :: v_dual_mov_b32 v13, v56
	v_lshrrev_b64 v[51:52], s20, v[22:23]
	v_dual_mov_b32 v20, v57 :: v_dual_mov_b32 v21, v58
	v_dual_mov_b32 v18, v59 :: v_dual_mov_b32 v19, v60
	v_mov_b32_e32 v38, v5
	s_delay_alu instid0(VALU_DEP_4) | instskip(SKIP_3) | instid1(VALU_DEP_4)
	v_dual_mov_b32 v37, v4 :: v_dual_and_b32 v24, 1, v51
	v_lshlrev_b32_e32 v25, 30, v51
	v_lshlrev_b32_e32 v26, 29, v51
	v_dual_mov_b32 v42, v1 :: v_dual_lshlrev_b32 v27, 28, v51
	v_add_co_u32 v24, s12, v24, -1
	s_delay_alu instid0(VALU_DEP_1)
	v_cndmask_b32_e64 v28, 0, 1, s12
	v_not_b32_e32 v32, v25
	v_cmp_gt_i32_e64 s12, 0, v25
	v_mov_b32_e32 v41, v0
	v_not_b32_e32 v25, v26
	v_cmp_ne_u32_e32 vcc_lo, 0, v28
	v_ashrrev_i32_e32 v32, 31, v32
	v_dual_mov_b32 v40, v3 :: v_dual_lshlrev_b32 v29, 27, v51
	s_delay_alu instid0(VALU_DEP_4)
	v_ashrrev_i32_e32 v25, 31, v25
	v_xor_b32_e32 v24, vcc_lo, v24
	v_cmp_gt_i32_e32 vcc_lo, 0, v26
	v_not_b32_e32 v26, v27
	v_xor_b32_e32 v32, s12, v32
	v_dual_mov_b32 v39, v2 :: v_dual_lshlrev_b32 v30, 26, v51
	v_and_b32_e32 v24, exec_lo, v24
	v_cmp_gt_i32_e64 s12, 0, v27
	v_not_b32_e32 v27, v29
	v_ashrrev_i32_e32 v26, 31, v26
	v_xor_b32_e32 v25, vcc_lo, v25
	v_and_b32_e32 v24, v24, v32
	v_lshlrev_b32_e32 v31, 25, v51
	v_cmp_gt_i32_e32 vcc_lo, 0, v29
	v_not_b32_e32 v29, v30
	v_ashrrev_i32_e32 v27, 31, v27
	v_xor_b32_e32 v26, s12, v26
	v_and_b32_e32 v24, v24, v25
	v_lshlrev_b32_e32 v28, 24, v51
	v_cmp_gt_i32_e64 s12, 0, v30
	v_not_b32_e32 v25, v31
	v_ashrrev_i32_e32 v29, 31, v29
	v_xor_b32_e32 v27, vcc_lo, v27
	v_dual_mov_b32 v1, s14 :: v_dual_and_b32 v24, v24, v26
	v_cmp_gt_i32_e32 vcc_lo, 0, v31
	v_not_b32_e32 v26, v28
	v_ashrrev_i32_e32 v25, 31, v25
	v_xor_b32_e32 v29, s12, v29
	v_dual_mov_b32 v35, v47 :: v_dual_and_b32 v24, v24, v27
	s_delay_alu instid0(VALU_DEP_4) | instskip(NEXT) | instid1(VALU_DEP_4)
	v_ashrrev_i32_e32 v4, 31, v26
	v_xor_b32_e32 v5, vcc_lo, v25
	s_delay_alu instid0(VALU_DEP_3) | instskip(SKIP_2) | instid1(VALU_DEP_3)
	v_dual_mov_b32 v31, v7 :: v_dual_and_b32 v26, v24, v29
	v_dual_mov_b32 v24, v43 :: v_dual_mov_b32 v25, v44
	v_cmp_gt_i32_e64 s12, 0, v28
	v_dual_mov_b32 v28, v45 :: v_dual_and_b32 v3, v26, v5
	v_dual_mov_b32 v30, v6 :: v_dual_and_b32 v5, 0xff, v51
	s_delay_alu instid0(VALU_DEP_3) | instskip(SKIP_3) | instid1(VALU_DEP_4)
	v_xor_b32_e32 v0, s12, v4
	v_mov_b32_e32 v2, s15
	v_mov_b32_e32 v26, v49
	v_dual_mov_b32 v16, v61 :: v_dual_mov_b32 v17, v62
	v_dual_mov_b32 v3, s16 :: v_dual_and_b32 v0, v3, v0
	v_mov_b32_e32 v4, s17
	ds_store_2addr_b64 v83, v[1:2], v[3:4] offset0:5 offset1:6
	ds_store_2addr_b64 v87, v[1:2], v[3:4] offset0:2 offset1:3
	v_mbcnt_lo_u32_b32 v32, v0, 0
	v_mad_u32_u24 v1, v5, 10, v88
	v_cmp_ne_u32_e64 s12, 0, v0
	v_dual_mov_b32 v10, v63 :: v_dual_mov_b32 v11, v64
	s_delay_alu instid0(VALU_DEP_4)
	v_cmp_eq_u32_e32 vcc_lo, 0, v32
	v_dual_mov_b32 v8, v65 :: v_dual_mov_b32 v9, v66
	v_mov_b32_e32 v29, v46
	v_dual_mov_b32 v27, v50 :: v_dual_mov_b32 v36, v48
	v_lshl_add_u32 v43, v1, 2, 40
	s_and_b32 s22, s12, vcc_lo
	s_waitcnt lgkmcnt(0)
	s_barrier
	buffer_gl0_inv
	; wave barrier
	s_and_saveexec_b32 s12, s22
	s_cbranch_execz .LBB59_8
; %bb.7:                                ;   in Loop: Header=BB59_6 Depth=2
	v_bcnt_u32_b32 v0, v0, 0
	ds_store_b32 v43, v0
.LBB59_8:                               ;   in Loop: Header=BB59_6 Depth=2
	s_or_b32 exec_lo, exec_lo, s12
	v_lshrrev_b64 v[0:1], s20, v[14:15]
	; wave barrier
	s_delay_alu instid0(VALU_DEP_1)
	v_and_b32_e32 v2, 1, v0
	v_lshlrev_b32_e32 v3, 30, v0
	v_lshlrev_b32_e32 v4, 29, v0
	;; [unrolled: 1-line block ×4, first 2 shown]
	v_add_co_u32 v2, s12, v2, -1
	s_delay_alu instid0(VALU_DEP_1)
	v_cndmask_b32_e64 v6, 0, 1, s12
	v_not_b32_e32 v46, v3
	v_cmp_gt_i32_e64 s12, 0, v3
	v_not_b32_e32 v3, v4
	v_lshlrev_b32_e32 v44, 26, v0
	v_cmp_ne_u32_e32 vcc_lo, 0, v6
	v_ashrrev_i32_e32 v6, 31, v46
	v_lshlrev_b32_e32 v45, 25, v0
	v_ashrrev_i32_e32 v3, 31, v3
	v_and_b32_e32 v1, 0xff, v0
	v_xor_b32_e32 v2, vcc_lo, v2
	v_cmp_gt_i32_e32 vcc_lo, 0, v4
	v_not_b32_e32 v4, v5
	v_xor_b32_e32 v6, s12, v6
	v_cmp_gt_i32_e64 s12, 0, v5
	v_and_b32_e32 v2, exec_lo, v2
	v_not_b32_e32 v5, v7
	v_ashrrev_i32_e32 v4, 31, v4
	v_xor_b32_e32 v3, vcc_lo, v3
	v_cmp_gt_i32_e32 vcc_lo, 0, v7
	v_and_b32_e32 v2, v2, v6
	v_not_b32_e32 v6, v44
	v_ashrrev_i32_e32 v5, 31, v5
	v_xor_b32_e32 v4, s12, v4
	v_lshlrev_b32_e32 v0, 24, v0
	v_and_b32_e32 v2, v2, v3
	v_cmp_gt_i32_e64 s12, 0, v44
	v_not_b32_e32 v3, v45
	v_ashrrev_i32_e32 v6, 31, v6
	v_xor_b32_e32 v5, vcc_lo, v5
	v_and_b32_e32 v2, v2, v4
	v_cmp_gt_i32_e32 vcc_lo, 0, v45
	v_not_b32_e32 v4, v0
	v_ashrrev_i32_e32 v3, 31, v3
	v_xor_b32_e32 v6, s12, v6
	v_and_b32_e32 v2, v2, v5
	v_mul_u32_u24_e32 v1, 10, v1
	v_cmp_gt_i32_e64 s12, 0, v0
	v_ashrrev_i32_e32 v0, 31, v4
	v_xor_b32_e32 v3, vcc_lo, v3
	v_and_b32_e32 v2, v2, v6
	v_add_lshl_u32 v1, v1, v88, 2
	s_delay_alu instid0(VALU_DEP_4) | instskip(NEXT) | instid1(VALU_DEP_3)
	v_xor_b32_e32 v0, s12, v0
	v_and_b32_e32 v2, v2, v3
	ds_load_b32 v44, v1 offset:40
	v_add_nc_u32_e32 v46, 40, v1
	; wave barrier
	v_and_b32_e32 v0, v2, v0
	s_delay_alu instid0(VALU_DEP_1) | instskip(SKIP_1) | instid1(VALU_DEP_2)
	v_mbcnt_lo_u32_b32 v45, v0, 0
	v_cmp_ne_u32_e64 s12, 0, v0
	v_cmp_eq_u32_e32 vcc_lo, 0, v45
	s_delay_alu instid0(VALU_DEP_2) | instskip(NEXT) | instid1(SALU_CYCLE_1)
	s_and_b32 s22, s12, vcc_lo
	s_and_saveexec_b32 s12, s22
	s_cbranch_execz .LBB59_10
; %bb.9:                                ;   in Loop: Header=BB59_6 Depth=2
	s_waitcnt lgkmcnt(0)
	v_bcnt_u32_b32 v0, v0, v44
	ds_store_b32 v46, v0
.LBB59_10:                              ;   in Loop: Header=BB59_6 Depth=2
	s_or_b32 exec_lo, exec_lo, s12
	v_lshrrev_b64 v[0:1], s20, v[12:13]
	; wave barrier
	s_delay_alu instid0(VALU_DEP_1)
	v_and_b32_e32 v2, 1, v0
	v_lshlrev_b32_e32 v3, 30, v0
	v_lshlrev_b32_e32 v4, 29, v0
	;; [unrolled: 1-line block ×4, first 2 shown]
	v_add_co_u32 v2, s12, v2, -1
	s_delay_alu instid0(VALU_DEP_1)
	v_cndmask_b32_e64 v6, 0, 1, s12
	v_not_b32_e32 v49, v3
	v_cmp_gt_i32_e64 s12, 0, v3
	v_not_b32_e32 v3, v4
	v_lshlrev_b32_e32 v47, 26, v0
	v_cmp_ne_u32_e32 vcc_lo, 0, v6
	v_ashrrev_i32_e32 v6, 31, v49
	v_lshlrev_b32_e32 v48, 25, v0
	v_ashrrev_i32_e32 v3, 31, v3
	v_and_b32_e32 v1, 0xff, v0
	v_xor_b32_e32 v2, vcc_lo, v2
	v_cmp_gt_i32_e32 vcc_lo, 0, v4
	v_not_b32_e32 v4, v5
	v_xor_b32_e32 v6, s12, v6
	v_cmp_gt_i32_e64 s12, 0, v5
	v_and_b32_e32 v2, exec_lo, v2
	v_not_b32_e32 v5, v7
	v_ashrrev_i32_e32 v4, 31, v4
	v_xor_b32_e32 v3, vcc_lo, v3
	v_cmp_gt_i32_e32 vcc_lo, 0, v7
	v_and_b32_e32 v2, v2, v6
	v_not_b32_e32 v6, v47
	v_ashrrev_i32_e32 v5, 31, v5
	v_xor_b32_e32 v4, s12, v4
	v_lshlrev_b32_e32 v0, 24, v0
	v_and_b32_e32 v2, v2, v3
	v_cmp_gt_i32_e64 s12, 0, v47
	v_not_b32_e32 v3, v48
	v_ashrrev_i32_e32 v6, 31, v6
	v_xor_b32_e32 v5, vcc_lo, v5
	v_and_b32_e32 v2, v2, v4
	v_cmp_gt_i32_e32 vcc_lo, 0, v48
	v_not_b32_e32 v4, v0
	v_ashrrev_i32_e32 v3, 31, v3
	v_xor_b32_e32 v6, s12, v6
	v_and_b32_e32 v2, v2, v5
	v_mul_u32_u24_e32 v1, 10, v1
	v_cmp_gt_i32_e64 s12, 0, v0
	v_ashrrev_i32_e32 v0, 31, v4
	v_xor_b32_e32 v3, vcc_lo, v3
	v_and_b32_e32 v2, v2, v6
	v_add_lshl_u32 v1, v1, v88, 2
	s_delay_alu instid0(VALU_DEP_4) | instskip(NEXT) | instid1(VALU_DEP_3)
	v_xor_b32_e32 v0, s12, v0
	v_and_b32_e32 v2, v2, v3
	ds_load_b32 v47, v1 offset:40
	v_add_nc_u32_e32 v49, 40, v1
	; wave barrier
	v_and_b32_e32 v0, v2, v0
	s_delay_alu instid0(VALU_DEP_1) | instskip(SKIP_1) | instid1(VALU_DEP_2)
	v_mbcnt_lo_u32_b32 v48, v0, 0
	v_cmp_ne_u32_e64 s12, 0, v0
	v_cmp_eq_u32_e32 vcc_lo, 0, v48
	s_delay_alu instid0(VALU_DEP_2) | instskip(NEXT) | instid1(SALU_CYCLE_1)
	s_and_b32 s22, s12, vcc_lo
	s_and_saveexec_b32 s12, s22
	s_cbranch_execz .LBB59_12
; %bb.11:                               ;   in Loop: Header=BB59_6 Depth=2
	s_waitcnt lgkmcnt(0)
	v_bcnt_u32_b32 v0, v0, v47
	ds_store_b32 v49, v0
.LBB59_12:                              ;   in Loop: Header=BB59_6 Depth=2
	s_or_b32 exec_lo, exec_lo, s12
	v_lshrrev_b64 v[0:1], s20, v[20:21]
	; wave barrier
	s_delay_alu instid0(VALU_DEP_1)
	v_and_b32_e32 v2, 1, v0
	v_lshlrev_b32_e32 v3, 30, v0
	v_lshlrev_b32_e32 v4, 29, v0
	;; [unrolled: 1-line block ×4, first 2 shown]
	v_add_co_u32 v2, s12, v2, -1
	s_delay_alu instid0(VALU_DEP_1)
	v_cndmask_b32_e64 v6, 0, 1, s12
	v_not_b32_e32 v52, v3
	v_cmp_gt_i32_e64 s12, 0, v3
	v_not_b32_e32 v3, v4
	v_lshlrev_b32_e32 v50, 26, v0
	v_cmp_ne_u32_e32 vcc_lo, 0, v6
	v_ashrrev_i32_e32 v6, 31, v52
	v_lshlrev_b32_e32 v51, 25, v0
	v_ashrrev_i32_e32 v3, 31, v3
	v_and_b32_e32 v1, 0xff, v0
	v_xor_b32_e32 v2, vcc_lo, v2
	v_cmp_gt_i32_e32 vcc_lo, 0, v4
	v_not_b32_e32 v4, v5
	v_xor_b32_e32 v6, s12, v6
	v_cmp_gt_i32_e64 s12, 0, v5
	v_and_b32_e32 v2, exec_lo, v2
	v_not_b32_e32 v5, v7
	v_ashrrev_i32_e32 v4, 31, v4
	v_xor_b32_e32 v3, vcc_lo, v3
	v_cmp_gt_i32_e32 vcc_lo, 0, v7
	v_and_b32_e32 v2, v2, v6
	v_not_b32_e32 v6, v50
	v_ashrrev_i32_e32 v5, 31, v5
	v_xor_b32_e32 v4, s12, v4
	v_lshlrev_b32_e32 v0, 24, v0
	v_and_b32_e32 v2, v2, v3
	v_cmp_gt_i32_e64 s12, 0, v50
	v_not_b32_e32 v3, v51
	v_ashrrev_i32_e32 v6, 31, v6
	v_xor_b32_e32 v5, vcc_lo, v5
	v_and_b32_e32 v2, v2, v4
	v_cmp_gt_i32_e32 vcc_lo, 0, v51
	v_not_b32_e32 v4, v0
	v_ashrrev_i32_e32 v3, 31, v3
	v_xor_b32_e32 v6, s12, v6
	v_and_b32_e32 v2, v2, v5
	v_mul_u32_u24_e32 v1, 10, v1
	v_cmp_gt_i32_e64 s12, 0, v0
	v_ashrrev_i32_e32 v0, 31, v4
	v_xor_b32_e32 v3, vcc_lo, v3
	v_and_b32_e32 v2, v2, v6
	v_add_lshl_u32 v1, v1, v88, 2
	s_delay_alu instid0(VALU_DEP_4) | instskip(NEXT) | instid1(VALU_DEP_3)
	v_xor_b32_e32 v0, s12, v0
	v_and_b32_e32 v2, v2, v3
	ds_load_b32 v50, v1 offset:40
	v_add_nc_u32_e32 v52, 40, v1
	; wave barrier
	v_and_b32_e32 v0, v2, v0
	s_delay_alu instid0(VALU_DEP_1) | instskip(SKIP_1) | instid1(VALU_DEP_2)
	v_mbcnt_lo_u32_b32 v51, v0, 0
	v_cmp_ne_u32_e64 s12, 0, v0
	v_cmp_eq_u32_e32 vcc_lo, 0, v51
	s_delay_alu instid0(VALU_DEP_2) | instskip(NEXT) | instid1(SALU_CYCLE_1)
	s_and_b32 s22, s12, vcc_lo
	s_and_saveexec_b32 s12, s22
	s_cbranch_execz .LBB59_14
; %bb.13:                               ;   in Loop: Header=BB59_6 Depth=2
	s_waitcnt lgkmcnt(0)
	v_bcnt_u32_b32 v0, v0, v50
	ds_store_b32 v52, v0
.LBB59_14:                              ;   in Loop: Header=BB59_6 Depth=2
	s_or_b32 exec_lo, exec_lo, s12
	v_lshrrev_b64 v[0:1], s20, v[18:19]
	; wave barrier
	s_delay_alu instid0(VALU_DEP_1)
	v_and_b32_e32 v2, 1, v0
	v_lshlrev_b32_e32 v3, 30, v0
	v_lshlrev_b32_e32 v4, 29, v0
	;; [unrolled: 1-line block ×4, first 2 shown]
	v_add_co_u32 v2, s12, v2, -1
	s_delay_alu instid0(VALU_DEP_1)
	v_cndmask_b32_e64 v6, 0, 1, s12
	v_not_b32_e32 v55, v3
	v_cmp_gt_i32_e64 s12, 0, v3
	v_not_b32_e32 v3, v4
	v_lshlrev_b32_e32 v53, 26, v0
	v_cmp_ne_u32_e32 vcc_lo, 0, v6
	v_ashrrev_i32_e32 v6, 31, v55
	v_lshlrev_b32_e32 v54, 25, v0
	v_ashrrev_i32_e32 v3, 31, v3
	v_and_b32_e32 v1, 0xff, v0
	v_xor_b32_e32 v2, vcc_lo, v2
	v_cmp_gt_i32_e32 vcc_lo, 0, v4
	v_not_b32_e32 v4, v5
	v_xor_b32_e32 v6, s12, v6
	v_cmp_gt_i32_e64 s12, 0, v5
	v_and_b32_e32 v2, exec_lo, v2
	v_not_b32_e32 v5, v7
	v_ashrrev_i32_e32 v4, 31, v4
	v_xor_b32_e32 v3, vcc_lo, v3
	v_cmp_gt_i32_e32 vcc_lo, 0, v7
	v_and_b32_e32 v2, v2, v6
	v_not_b32_e32 v6, v53
	v_ashrrev_i32_e32 v5, 31, v5
	v_xor_b32_e32 v4, s12, v4
	v_lshlrev_b32_e32 v0, 24, v0
	v_and_b32_e32 v2, v2, v3
	v_cmp_gt_i32_e64 s12, 0, v53
	v_not_b32_e32 v3, v54
	v_ashrrev_i32_e32 v6, 31, v6
	v_xor_b32_e32 v5, vcc_lo, v5
	v_and_b32_e32 v2, v2, v4
	v_cmp_gt_i32_e32 vcc_lo, 0, v54
	v_not_b32_e32 v4, v0
	v_ashrrev_i32_e32 v3, 31, v3
	v_xor_b32_e32 v6, s12, v6
	v_and_b32_e32 v2, v2, v5
	v_mul_u32_u24_e32 v1, 10, v1
	v_cmp_gt_i32_e64 s12, 0, v0
	v_ashrrev_i32_e32 v0, 31, v4
	v_xor_b32_e32 v3, vcc_lo, v3
	v_and_b32_e32 v2, v2, v6
	v_add_lshl_u32 v1, v1, v88, 2
	s_delay_alu instid0(VALU_DEP_4) | instskip(NEXT) | instid1(VALU_DEP_3)
	v_xor_b32_e32 v0, s12, v0
	v_and_b32_e32 v2, v2, v3
	ds_load_b32 v53, v1 offset:40
	v_add_nc_u32_e32 v55, 40, v1
	; wave barrier
	v_and_b32_e32 v0, v2, v0
	s_delay_alu instid0(VALU_DEP_1) | instskip(SKIP_1) | instid1(VALU_DEP_2)
	v_mbcnt_lo_u32_b32 v54, v0, 0
	v_cmp_ne_u32_e64 s12, 0, v0
	v_cmp_eq_u32_e32 vcc_lo, 0, v54
	s_delay_alu instid0(VALU_DEP_2) | instskip(NEXT) | instid1(SALU_CYCLE_1)
	s_and_b32 s22, s12, vcc_lo
	s_and_saveexec_b32 s12, s22
	s_cbranch_execz .LBB59_16
; %bb.15:                               ;   in Loop: Header=BB59_6 Depth=2
	s_waitcnt lgkmcnt(0)
	v_bcnt_u32_b32 v0, v0, v53
	ds_store_b32 v55, v0
.LBB59_16:                              ;   in Loop: Header=BB59_6 Depth=2
	s_or_b32 exec_lo, exec_lo, s12
	v_lshrrev_b64 v[0:1], s20, v[16:17]
	; wave barrier
	s_delay_alu instid0(VALU_DEP_1)
	v_and_b32_e32 v2, 1, v0
	v_lshlrev_b32_e32 v3, 30, v0
	v_lshlrev_b32_e32 v4, 29, v0
	;; [unrolled: 1-line block ×4, first 2 shown]
	v_add_co_u32 v2, s12, v2, -1
	s_delay_alu instid0(VALU_DEP_1)
	v_cndmask_b32_e64 v6, 0, 1, s12
	v_not_b32_e32 v58, v3
	v_cmp_gt_i32_e64 s12, 0, v3
	v_not_b32_e32 v3, v4
	v_lshlrev_b32_e32 v56, 26, v0
	v_cmp_ne_u32_e32 vcc_lo, 0, v6
	v_ashrrev_i32_e32 v6, 31, v58
	v_lshlrev_b32_e32 v57, 25, v0
	v_ashrrev_i32_e32 v3, 31, v3
	v_and_b32_e32 v1, 0xff, v0
	v_xor_b32_e32 v2, vcc_lo, v2
	v_cmp_gt_i32_e32 vcc_lo, 0, v4
	v_not_b32_e32 v4, v5
	v_xor_b32_e32 v6, s12, v6
	v_cmp_gt_i32_e64 s12, 0, v5
	v_and_b32_e32 v2, exec_lo, v2
	v_not_b32_e32 v5, v7
	v_ashrrev_i32_e32 v4, 31, v4
	v_xor_b32_e32 v3, vcc_lo, v3
	v_cmp_gt_i32_e32 vcc_lo, 0, v7
	v_and_b32_e32 v2, v2, v6
	v_not_b32_e32 v6, v56
	v_ashrrev_i32_e32 v5, 31, v5
	v_xor_b32_e32 v4, s12, v4
	v_lshlrev_b32_e32 v0, 24, v0
	v_and_b32_e32 v2, v2, v3
	v_cmp_gt_i32_e64 s12, 0, v56
	v_not_b32_e32 v3, v57
	v_ashrrev_i32_e32 v6, 31, v6
	v_xor_b32_e32 v5, vcc_lo, v5
	v_and_b32_e32 v2, v2, v4
	v_cmp_gt_i32_e32 vcc_lo, 0, v57
	v_not_b32_e32 v4, v0
	v_ashrrev_i32_e32 v3, 31, v3
	v_xor_b32_e32 v6, s12, v6
	v_and_b32_e32 v2, v2, v5
	v_mul_u32_u24_e32 v1, 10, v1
	v_cmp_gt_i32_e64 s12, 0, v0
	v_ashrrev_i32_e32 v0, 31, v4
	v_xor_b32_e32 v3, vcc_lo, v3
	v_and_b32_e32 v2, v2, v6
	v_add_lshl_u32 v1, v1, v88, 2
	s_delay_alu instid0(VALU_DEP_4) | instskip(NEXT) | instid1(VALU_DEP_3)
	v_xor_b32_e32 v0, s12, v0
	v_and_b32_e32 v2, v2, v3
	ds_load_b32 v56, v1 offset:40
	v_add_nc_u32_e32 v58, 40, v1
	; wave barrier
	v_and_b32_e32 v0, v2, v0
	s_delay_alu instid0(VALU_DEP_1) | instskip(SKIP_1) | instid1(VALU_DEP_2)
	v_mbcnt_lo_u32_b32 v57, v0, 0
	v_cmp_ne_u32_e64 s12, 0, v0
	v_cmp_eq_u32_e32 vcc_lo, 0, v57
	s_delay_alu instid0(VALU_DEP_2) | instskip(NEXT) | instid1(SALU_CYCLE_1)
	s_and_b32 s22, s12, vcc_lo
	s_and_saveexec_b32 s12, s22
	s_cbranch_execz .LBB59_18
; %bb.17:                               ;   in Loop: Header=BB59_6 Depth=2
	s_waitcnt lgkmcnt(0)
	v_bcnt_u32_b32 v0, v0, v56
	ds_store_b32 v58, v0
.LBB59_18:                              ;   in Loop: Header=BB59_6 Depth=2
	s_or_b32 exec_lo, exec_lo, s12
	v_lshrrev_b64 v[0:1], s20, v[10:11]
	; wave barrier
	s_delay_alu instid0(VALU_DEP_1)
	v_and_b32_e32 v2, 1, v0
	v_lshlrev_b32_e32 v3, 30, v0
	v_lshlrev_b32_e32 v4, 29, v0
	;; [unrolled: 1-line block ×4, first 2 shown]
	v_add_co_u32 v2, s12, v2, -1
	s_delay_alu instid0(VALU_DEP_1)
	v_cndmask_b32_e64 v6, 0, 1, s12
	v_not_b32_e32 v61, v3
	v_cmp_gt_i32_e64 s12, 0, v3
	v_not_b32_e32 v3, v4
	v_lshlrev_b32_e32 v59, 26, v0
	v_cmp_ne_u32_e32 vcc_lo, 0, v6
	v_ashrrev_i32_e32 v6, 31, v61
	v_lshlrev_b32_e32 v60, 25, v0
	v_ashrrev_i32_e32 v3, 31, v3
	v_and_b32_e32 v1, 0xff, v0
	v_xor_b32_e32 v2, vcc_lo, v2
	v_cmp_gt_i32_e32 vcc_lo, 0, v4
	v_not_b32_e32 v4, v5
	v_xor_b32_e32 v6, s12, v6
	v_cmp_gt_i32_e64 s12, 0, v5
	v_and_b32_e32 v2, exec_lo, v2
	v_not_b32_e32 v5, v7
	v_ashrrev_i32_e32 v4, 31, v4
	v_xor_b32_e32 v3, vcc_lo, v3
	v_cmp_gt_i32_e32 vcc_lo, 0, v7
	v_and_b32_e32 v2, v2, v6
	v_not_b32_e32 v6, v59
	v_ashrrev_i32_e32 v5, 31, v5
	v_xor_b32_e32 v4, s12, v4
	v_lshlrev_b32_e32 v0, 24, v0
	v_and_b32_e32 v2, v2, v3
	v_cmp_gt_i32_e64 s12, 0, v59
	v_not_b32_e32 v3, v60
	v_ashrrev_i32_e32 v6, 31, v6
	v_xor_b32_e32 v5, vcc_lo, v5
	v_and_b32_e32 v2, v2, v4
	v_cmp_gt_i32_e32 vcc_lo, 0, v60
	v_not_b32_e32 v4, v0
	v_ashrrev_i32_e32 v3, 31, v3
	v_xor_b32_e32 v6, s12, v6
	v_and_b32_e32 v2, v2, v5
	v_mul_u32_u24_e32 v1, 10, v1
	v_cmp_gt_i32_e64 s12, 0, v0
	v_ashrrev_i32_e32 v0, 31, v4
	v_xor_b32_e32 v3, vcc_lo, v3
	v_and_b32_e32 v2, v2, v6
	v_add_lshl_u32 v1, v1, v88, 2
	s_delay_alu instid0(VALU_DEP_4) | instskip(NEXT) | instid1(VALU_DEP_3)
	v_xor_b32_e32 v0, s12, v0
	v_and_b32_e32 v2, v2, v3
	ds_load_b32 v59, v1 offset:40
	v_add_nc_u32_e32 v61, 40, v1
	; wave barrier
	v_and_b32_e32 v0, v2, v0
	s_delay_alu instid0(VALU_DEP_1) | instskip(SKIP_1) | instid1(VALU_DEP_2)
	v_mbcnt_lo_u32_b32 v60, v0, 0
	v_cmp_ne_u32_e64 s12, 0, v0
	v_cmp_eq_u32_e32 vcc_lo, 0, v60
	s_delay_alu instid0(VALU_DEP_2) | instskip(NEXT) | instid1(SALU_CYCLE_1)
	s_and_b32 s22, s12, vcc_lo
	s_and_saveexec_b32 s12, s22
	s_cbranch_execz .LBB59_20
; %bb.19:                               ;   in Loop: Header=BB59_6 Depth=2
	s_waitcnt lgkmcnt(0)
	v_bcnt_u32_b32 v0, v0, v59
	ds_store_b32 v61, v0
.LBB59_20:                              ;   in Loop: Header=BB59_6 Depth=2
	s_or_b32 exec_lo, exec_lo, s12
	v_lshrrev_b64 v[0:1], s20, v[8:9]
	; wave barrier
	s_delay_alu instid0(VALU_DEP_1)
	v_and_b32_e32 v2, 1, v0
	v_lshlrev_b32_e32 v3, 30, v0
	v_lshlrev_b32_e32 v4, 29, v0
	v_lshlrev_b32_e32 v5, 28, v0
	v_lshlrev_b32_e32 v7, 27, v0
	v_add_co_u32 v2, s12, v2, -1
	s_delay_alu instid0(VALU_DEP_1)
	v_cndmask_b32_e64 v6, 0, 1, s12
	v_not_b32_e32 v64, v3
	v_cmp_gt_i32_e64 s12, 0, v3
	v_not_b32_e32 v3, v4
	v_lshlrev_b32_e32 v62, 26, v0
	v_cmp_ne_u32_e32 vcc_lo, 0, v6
	v_ashrrev_i32_e32 v6, 31, v64
	v_lshlrev_b32_e32 v63, 25, v0
	v_ashrrev_i32_e32 v3, 31, v3
	v_and_b32_e32 v1, 0xff, v0
	v_xor_b32_e32 v2, vcc_lo, v2
	v_cmp_gt_i32_e32 vcc_lo, 0, v4
	v_not_b32_e32 v4, v5
	v_xor_b32_e32 v6, s12, v6
	v_cmp_gt_i32_e64 s12, 0, v5
	v_and_b32_e32 v2, exec_lo, v2
	v_not_b32_e32 v5, v7
	v_ashrrev_i32_e32 v4, 31, v4
	v_xor_b32_e32 v3, vcc_lo, v3
	v_cmp_gt_i32_e32 vcc_lo, 0, v7
	v_and_b32_e32 v2, v2, v6
	v_not_b32_e32 v6, v62
	v_ashrrev_i32_e32 v5, 31, v5
	v_xor_b32_e32 v4, s12, v4
	v_lshlrev_b32_e32 v0, 24, v0
	v_and_b32_e32 v2, v2, v3
	v_cmp_gt_i32_e64 s12, 0, v62
	v_not_b32_e32 v3, v63
	v_ashrrev_i32_e32 v6, 31, v6
	v_xor_b32_e32 v5, vcc_lo, v5
	v_and_b32_e32 v2, v2, v4
	v_cmp_gt_i32_e32 vcc_lo, 0, v63
	v_not_b32_e32 v4, v0
	v_ashrrev_i32_e32 v3, 31, v3
	v_xor_b32_e32 v6, s12, v6
	v_and_b32_e32 v2, v2, v5
	v_mul_u32_u24_e32 v1, 10, v1
	v_cmp_gt_i32_e64 s12, 0, v0
	v_ashrrev_i32_e32 v0, 31, v4
	v_xor_b32_e32 v3, vcc_lo, v3
	v_and_b32_e32 v2, v2, v6
	v_add_lshl_u32 v1, v1, v88, 2
	s_delay_alu instid0(VALU_DEP_4) | instskip(NEXT) | instid1(VALU_DEP_3)
	v_xor_b32_e32 v0, s12, v0
	v_and_b32_e32 v2, v2, v3
	ds_load_b32 v62, v1 offset:40
	v_add_nc_u32_e32 v64, 40, v1
	; wave barrier
	v_and_b32_e32 v0, v2, v0
	s_delay_alu instid0(VALU_DEP_1) | instskip(SKIP_1) | instid1(VALU_DEP_2)
	v_mbcnt_lo_u32_b32 v63, v0, 0
	v_cmp_ne_u32_e64 s12, 0, v0
	v_cmp_eq_u32_e32 vcc_lo, 0, v63
	s_delay_alu instid0(VALU_DEP_2) | instskip(NEXT) | instid1(SALU_CYCLE_1)
	s_and_b32 s22, s12, vcc_lo
	s_and_saveexec_b32 s12, s22
	s_cbranch_execz .LBB59_22
; %bb.21:                               ;   in Loop: Header=BB59_6 Depth=2
	s_waitcnt lgkmcnt(0)
	v_bcnt_u32_b32 v0, v0, v62
	ds_store_b32 v64, v0
.LBB59_22:                              ;   in Loop: Header=BB59_6 Depth=2
	s_or_b32 exec_lo, exec_lo, s12
	v_lshrrev_b64 v[0:1], s20, v[37:38]
	; wave barrier
	s_delay_alu instid0(VALU_DEP_1)
	v_and_b32_e32 v2, 1, v0
	v_lshlrev_b32_e32 v3, 30, v0
	v_lshlrev_b32_e32 v4, 29, v0
	;; [unrolled: 1-line block ×4, first 2 shown]
	v_add_co_u32 v2, s12, v2, -1
	s_delay_alu instid0(VALU_DEP_1)
	v_cndmask_b32_e64 v6, 0, 1, s12
	v_not_b32_e32 v113, v3
	v_cmp_gt_i32_e64 s12, 0, v3
	v_not_b32_e32 v3, v4
	v_lshlrev_b32_e32 v65, 26, v0
	v_cmp_ne_u32_e32 vcc_lo, 0, v6
	v_ashrrev_i32_e32 v6, 31, v113
	v_lshlrev_b32_e32 v66, 25, v0
	v_ashrrev_i32_e32 v3, 31, v3
	v_and_b32_e32 v1, 0xff, v0
	v_xor_b32_e32 v2, vcc_lo, v2
	v_cmp_gt_i32_e32 vcc_lo, 0, v4
	v_not_b32_e32 v4, v5
	v_xor_b32_e32 v6, s12, v6
	v_cmp_gt_i32_e64 s12, 0, v5
	v_and_b32_e32 v2, exec_lo, v2
	v_not_b32_e32 v5, v7
	v_ashrrev_i32_e32 v4, 31, v4
	v_xor_b32_e32 v3, vcc_lo, v3
	v_cmp_gt_i32_e32 vcc_lo, 0, v7
	v_and_b32_e32 v2, v2, v6
	v_not_b32_e32 v6, v65
	v_ashrrev_i32_e32 v5, 31, v5
	v_xor_b32_e32 v4, s12, v4
	v_lshlrev_b32_e32 v0, 24, v0
	v_and_b32_e32 v2, v2, v3
	v_cmp_gt_i32_e64 s12, 0, v65
	v_not_b32_e32 v3, v66
	v_ashrrev_i32_e32 v6, 31, v6
	v_xor_b32_e32 v5, vcc_lo, v5
	v_and_b32_e32 v2, v2, v4
	v_cmp_gt_i32_e32 vcc_lo, 0, v66
	v_not_b32_e32 v4, v0
	v_ashrrev_i32_e32 v3, 31, v3
	v_xor_b32_e32 v6, s12, v6
	v_and_b32_e32 v2, v2, v5
	v_mul_u32_u24_e32 v1, 10, v1
	v_cmp_gt_i32_e64 s12, 0, v0
	v_ashrrev_i32_e32 v0, 31, v4
	v_xor_b32_e32 v3, vcc_lo, v3
	v_and_b32_e32 v2, v2, v6
	v_add_lshl_u32 v1, v1, v88, 2
	s_delay_alu instid0(VALU_DEP_4) | instskip(NEXT) | instid1(VALU_DEP_3)
	v_xor_b32_e32 v0, s12, v0
	v_and_b32_e32 v2, v2, v3
	ds_load_b32 v65, v1 offset:40
	v_add_nc_u32_e32 v113, 40, v1
	; wave barrier
	v_and_b32_e32 v0, v2, v0
	s_delay_alu instid0(VALU_DEP_1) | instskip(SKIP_1) | instid1(VALU_DEP_2)
	v_mbcnt_lo_u32_b32 v66, v0, 0
	v_cmp_ne_u32_e64 s12, 0, v0
	v_cmp_eq_u32_e32 vcc_lo, 0, v66
	s_delay_alu instid0(VALU_DEP_2) | instskip(NEXT) | instid1(SALU_CYCLE_1)
	s_and_b32 s22, s12, vcc_lo
	s_and_saveexec_b32 s12, s22
	s_cbranch_execz .LBB59_24
; %bb.23:                               ;   in Loop: Header=BB59_6 Depth=2
	s_waitcnt lgkmcnt(0)
	v_bcnt_u32_b32 v0, v0, v65
	ds_store_b32 v113, v0
.LBB59_24:                              ;   in Loop: Header=BB59_6 Depth=2
	s_or_b32 exec_lo, exec_lo, s12
	v_lshrrev_b64 v[0:1], s20, v[41:42]
	; wave barrier
	s_delay_alu instid0(VALU_DEP_1)
	v_and_b32_e32 v2, 1, v0
	v_lshlrev_b32_e32 v3, 30, v0
	v_lshlrev_b32_e32 v4, 29, v0
	v_lshlrev_b32_e32 v5, 28, v0
	v_lshlrev_b32_e32 v7, 27, v0
	v_add_co_u32 v2, s12, v2, -1
	s_delay_alu instid0(VALU_DEP_1)
	v_cndmask_b32_e64 v6, 0, 1, s12
	v_not_b32_e32 v116, v3
	v_cmp_gt_i32_e64 s12, 0, v3
	v_not_b32_e32 v3, v4
	v_lshlrev_b32_e32 v114, 26, v0
	v_cmp_ne_u32_e32 vcc_lo, 0, v6
	v_ashrrev_i32_e32 v6, 31, v116
	v_lshlrev_b32_e32 v115, 25, v0
	v_ashrrev_i32_e32 v3, 31, v3
	v_and_b32_e32 v1, 0xff, v0
	v_xor_b32_e32 v2, vcc_lo, v2
	v_cmp_gt_i32_e32 vcc_lo, 0, v4
	v_not_b32_e32 v4, v5
	v_xor_b32_e32 v6, s12, v6
	v_cmp_gt_i32_e64 s12, 0, v5
	v_and_b32_e32 v2, exec_lo, v2
	v_not_b32_e32 v5, v7
	v_ashrrev_i32_e32 v4, 31, v4
	v_xor_b32_e32 v3, vcc_lo, v3
	v_cmp_gt_i32_e32 vcc_lo, 0, v7
	v_and_b32_e32 v2, v2, v6
	v_not_b32_e32 v6, v114
	v_ashrrev_i32_e32 v5, 31, v5
	v_xor_b32_e32 v4, s12, v4
	v_lshlrev_b32_e32 v0, 24, v0
	v_and_b32_e32 v2, v2, v3
	v_cmp_gt_i32_e64 s12, 0, v114
	v_not_b32_e32 v3, v115
	v_ashrrev_i32_e32 v6, 31, v6
	v_xor_b32_e32 v5, vcc_lo, v5
	v_and_b32_e32 v2, v2, v4
	v_cmp_gt_i32_e32 vcc_lo, 0, v115
	v_not_b32_e32 v4, v0
	v_ashrrev_i32_e32 v3, 31, v3
	v_xor_b32_e32 v6, s12, v6
	v_and_b32_e32 v2, v2, v5
	v_mul_u32_u24_e32 v1, 10, v1
	v_cmp_gt_i32_e64 s12, 0, v0
	v_ashrrev_i32_e32 v0, 31, v4
	v_xor_b32_e32 v3, vcc_lo, v3
	v_and_b32_e32 v2, v2, v6
	v_add_lshl_u32 v1, v1, v88, 2
	s_delay_alu instid0(VALU_DEP_4) | instskip(NEXT) | instid1(VALU_DEP_3)
	v_xor_b32_e32 v0, s12, v0
	v_and_b32_e32 v2, v2, v3
	ds_load_b32 v114, v1 offset:40
	v_add_nc_u32_e32 v116, 40, v1
	; wave barrier
	v_and_b32_e32 v0, v2, v0
	s_delay_alu instid0(VALU_DEP_1) | instskip(SKIP_1) | instid1(VALU_DEP_2)
	v_mbcnt_lo_u32_b32 v115, v0, 0
	v_cmp_ne_u32_e64 s12, 0, v0
	v_cmp_eq_u32_e32 vcc_lo, 0, v115
	s_delay_alu instid0(VALU_DEP_2) | instskip(NEXT) | instid1(SALU_CYCLE_1)
	s_and_b32 s22, s12, vcc_lo
	s_and_saveexec_b32 s12, s22
	s_cbranch_execz .LBB59_26
; %bb.25:                               ;   in Loop: Header=BB59_6 Depth=2
	s_waitcnt lgkmcnt(0)
	v_bcnt_u32_b32 v0, v0, v114
	ds_store_b32 v116, v0
.LBB59_26:                              ;   in Loop: Header=BB59_6 Depth=2
	s_or_b32 exec_lo, exec_lo, s12
	v_lshrrev_b64 v[0:1], s20, v[39:40]
	; wave barrier
	s_delay_alu instid0(VALU_DEP_1)
	v_and_b32_e32 v2, 1, v0
	v_lshlrev_b32_e32 v3, 30, v0
	v_lshlrev_b32_e32 v4, 29, v0
	;; [unrolled: 1-line block ×4, first 2 shown]
	v_add_co_u32 v2, s12, v2, -1
	s_delay_alu instid0(VALU_DEP_1)
	v_cndmask_b32_e64 v6, 0, 1, s12
	v_not_b32_e32 v119, v3
	v_cmp_gt_i32_e64 s12, 0, v3
	v_not_b32_e32 v3, v4
	v_lshlrev_b32_e32 v117, 26, v0
	v_cmp_ne_u32_e32 vcc_lo, 0, v6
	v_ashrrev_i32_e32 v6, 31, v119
	v_lshlrev_b32_e32 v118, 25, v0
	v_ashrrev_i32_e32 v3, 31, v3
	v_and_b32_e32 v1, 0xff, v0
	v_xor_b32_e32 v2, vcc_lo, v2
	v_cmp_gt_i32_e32 vcc_lo, 0, v4
	v_not_b32_e32 v4, v5
	v_xor_b32_e32 v6, s12, v6
	v_cmp_gt_i32_e64 s12, 0, v5
	v_and_b32_e32 v2, exec_lo, v2
	v_not_b32_e32 v5, v7
	v_ashrrev_i32_e32 v4, 31, v4
	v_xor_b32_e32 v3, vcc_lo, v3
	v_cmp_gt_i32_e32 vcc_lo, 0, v7
	v_and_b32_e32 v2, v2, v6
	v_not_b32_e32 v6, v117
	v_ashrrev_i32_e32 v5, 31, v5
	v_xor_b32_e32 v4, s12, v4
	v_lshlrev_b32_e32 v0, 24, v0
	v_and_b32_e32 v2, v2, v3
	v_cmp_gt_i32_e64 s12, 0, v117
	v_not_b32_e32 v3, v118
	v_ashrrev_i32_e32 v6, 31, v6
	v_xor_b32_e32 v5, vcc_lo, v5
	v_and_b32_e32 v2, v2, v4
	v_cmp_gt_i32_e32 vcc_lo, 0, v118
	v_not_b32_e32 v4, v0
	v_ashrrev_i32_e32 v3, 31, v3
	v_xor_b32_e32 v6, s12, v6
	v_and_b32_e32 v2, v2, v5
	v_mul_u32_u24_e32 v1, 10, v1
	v_cmp_gt_i32_e64 s12, 0, v0
	v_ashrrev_i32_e32 v0, 31, v4
	v_xor_b32_e32 v3, vcc_lo, v3
	v_and_b32_e32 v2, v2, v6
	v_add_lshl_u32 v1, v1, v88, 2
	s_delay_alu instid0(VALU_DEP_4) | instskip(NEXT) | instid1(VALU_DEP_3)
	v_xor_b32_e32 v0, s12, v0
	v_and_b32_e32 v2, v2, v3
	ds_load_b32 v117, v1 offset:40
	v_add_nc_u32_e32 v119, 40, v1
	; wave barrier
	v_and_b32_e32 v0, v2, v0
	s_delay_alu instid0(VALU_DEP_1) | instskip(SKIP_1) | instid1(VALU_DEP_2)
	v_mbcnt_lo_u32_b32 v118, v0, 0
	v_cmp_ne_u32_e64 s12, 0, v0
	v_cmp_eq_u32_e32 vcc_lo, 0, v118
	s_delay_alu instid0(VALU_DEP_2) | instskip(NEXT) | instid1(SALU_CYCLE_1)
	s_and_b32 s22, s12, vcc_lo
	s_and_saveexec_b32 s12, s22
	s_cbranch_execz .LBB59_28
; %bb.27:                               ;   in Loop: Header=BB59_6 Depth=2
	s_waitcnt lgkmcnt(0)
	v_bcnt_u32_b32 v0, v0, v117
	ds_store_b32 v119, v0
.LBB59_28:                              ;   in Loop: Header=BB59_6 Depth=2
	s_or_b32 exec_lo, exec_lo, s12
	v_lshrrev_b64 v[0:1], s20, v[24:25]
	; wave barrier
	s_delay_alu instid0(VALU_DEP_1)
	v_and_b32_e32 v2, 1, v0
	v_lshlrev_b32_e32 v3, 30, v0
	v_lshlrev_b32_e32 v4, 29, v0
	;; [unrolled: 1-line block ×4, first 2 shown]
	v_add_co_u32 v2, s12, v2, -1
	s_delay_alu instid0(VALU_DEP_1)
	v_cndmask_b32_e64 v6, 0, 1, s12
	v_not_b32_e32 v122, v3
	v_cmp_gt_i32_e64 s12, 0, v3
	v_not_b32_e32 v3, v4
	v_lshlrev_b32_e32 v120, 26, v0
	v_cmp_ne_u32_e32 vcc_lo, 0, v6
	v_ashrrev_i32_e32 v6, 31, v122
	v_lshlrev_b32_e32 v121, 25, v0
	v_ashrrev_i32_e32 v3, 31, v3
	v_and_b32_e32 v1, 0xff, v0
	v_xor_b32_e32 v2, vcc_lo, v2
	v_cmp_gt_i32_e32 vcc_lo, 0, v4
	v_not_b32_e32 v4, v5
	v_xor_b32_e32 v6, s12, v6
	v_cmp_gt_i32_e64 s12, 0, v5
	v_and_b32_e32 v2, exec_lo, v2
	v_not_b32_e32 v5, v7
	v_ashrrev_i32_e32 v4, 31, v4
	v_xor_b32_e32 v3, vcc_lo, v3
	v_cmp_gt_i32_e32 vcc_lo, 0, v7
	v_and_b32_e32 v2, v2, v6
	v_not_b32_e32 v6, v120
	v_ashrrev_i32_e32 v5, 31, v5
	v_xor_b32_e32 v4, s12, v4
	v_lshlrev_b32_e32 v0, 24, v0
	v_and_b32_e32 v2, v2, v3
	v_cmp_gt_i32_e64 s12, 0, v120
	v_not_b32_e32 v3, v121
	v_ashrrev_i32_e32 v6, 31, v6
	v_xor_b32_e32 v5, vcc_lo, v5
	v_and_b32_e32 v2, v2, v4
	v_cmp_gt_i32_e32 vcc_lo, 0, v121
	v_not_b32_e32 v4, v0
	v_ashrrev_i32_e32 v3, 31, v3
	v_xor_b32_e32 v6, s12, v6
	v_and_b32_e32 v2, v2, v5
	v_mul_u32_u24_e32 v1, 10, v1
	v_cmp_gt_i32_e64 s12, 0, v0
	v_ashrrev_i32_e32 v0, 31, v4
	v_xor_b32_e32 v3, vcc_lo, v3
	v_and_b32_e32 v2, v2, v6
	v_add_lshl_u32 v1, v1, v88, 2
	s_delay_alu instid0(VALU_DEP_4) | instskip(NEXT) | instid1(VALU_DEP_3)
	v_xor_b32_e32 v0, s12, v0
	v_and_b32_e32 v2, v2, v3
	ds_load_b32 v120, v1 offset:40
	v_add_nc_u32_e32 v122, 40, v1
	; wave barrier
	v_and_b32_e32 v0, v2, v0
	s_delay_alu instid0(VALU_DEP_1) | instskip(SKIP_1) | instid1(VALU_DEP_2)
	v_mbcnt_lo_u32_b32 v121, v0, 0
	v_cmp_ne_u32_e64 s12, 0, v0
	v_cmp_eq_u32_e32 vcc_lo, 0, v121
	s_delay_alu instid0(VALU_DEP_2) | instskip(NEXT) | instid1(SALU_CYCLE_1)
	s_and_b32 s22, s12, vcc_lo
	s_and_saveexec_b32 s12, s22
	s_cbranch_execz .LBB59_30
; %bb.29:                               ;   in Loop: Header=BB59_6 Depth=2
	s_waitcnt lgkmcnt(0)
	v_bcnt_u32_b32 v0, v0, v120
	ds_store_b32 v122, v0
.LBB59_30:                              ;   in Loop: Header=BB59_6 Depth=2
	s_or_b32 exec_lo, exec_lo, s12
	v_lshrrev_b64 v[0:1], s20, v[30:31]
	; wave barrier
	s_delay_alu instid0(VALU_DEP_1)
	v_and_b32_e32 v2, 1, v0
	v_lshlrev_b32_e32 v3, 30, v0
	v_lshlrev_b32_e32 v4, 29, v0
	;; [unrolled: 1-line block ×4, first 2 shown]
	v_add_co_u32 v2, s12, v2, -1
	s_delay_alu instid0(VALU_DEP_1)
	v_cndmask_b32_e64 v6, 0, 1, s12
	v_not_b32_e32 v125, v3
	v_cmp_gt_i32_e64 s12, 0, v3
	v_not_b32_e32 v3, v4
	v_lshlrev_b32_e32 v123, 26, v0
	v_cmp_ne_u32_e32 vcc_lo, 0, v6
	v_ashrrev_i32_e32 v6, 31, v125
	v_lshlrev_b32_e32 v124, 25, v0
	v_ashrrev_i32_e32 v3, 31, v3
	v_and_b32_e32 v1, 0xff, v0
	v_xor_b32_e32 v2, vcc_lo, v2
	v_cmp_gt_i32_e32 vcc_lo, 0, v4
	v_not_b32_e32 v4, v5
	v_xor_b32_e32 v6, s12, v6
	v_cmp_gt_i32_e64 s12, 0, v5
	v_and_b32_e32 v2, exec_lo, v2
	v_not_b32_e32 v5, v7
	v_ashrrev_i32_e32 v4, 31, v4
	v_xor_b32_e32 v3, vcc_lo, v3
	v_cmp_gt_i32_e32 vcc_lo, 0, v7
	v_and_b32_e32 v2, v2, v6
	v_not_b32_e32 v6, v123
	v_ashrrev_i32_e32 v5, 31, v5
	v_xor_b32_e32 v4, s12, v4
	v_lshlrev_b32_e32 v0, 24, v0
	v_and_b32_e32 v2, v2, v3
	v_cmp_gt_i32_e64 s12, 0, v123
	v_not_b32_e32 v3, v124
	v_ashrrev_i32_e32 v6, 31, v6
	v_xor_b32_e32 v5, vcc_lo, v5
	v_and_b32_e32 v2, v2, v4
	v_cmp_gt_i32_e32 vcc_lo, 0, v124
	v_not_b32_e32 v4, v0
	v_ashrrev_i32_e32 v3, 31, v3
	v_xor_b32_e32 v6, s12, v6
	v_and_b32_e32 v2, v2, v5
	v_mul_u32_u24_e32 v1, 10, v1
	v_cmp_gt_i32_e64 s12, 0, v0
	v_ashrrev_i32_e32 v0, 31, v4
	v_xor_b32_e32 v3, vcc_lo, v3
	v_and_b32_e32 v2, v2, v6
	v_add_lshl_u32 v1, v1, v88, 2
	s_delay_alu instid0(VALU_DEP_4) | instskip(NEXT) | instid1(VALU_DEP_3)
	v_xor_b32_e32 v0, s12, v0
	v_and_b32_e32 v2, v2, v3
	ds_load_b32 v123, v1 offset:40
	v_add_nc_u32_e32 v125, 40, v1
	; wave barrier
	v_and_b32_e32 v0, v2, v0
	s_delay_alu instid0(VALU_DEP_1) | instskip(SKIP_1) | instid1(VALU_DEP_2)
	v_mbcnt_lo_u32_b32 v124, v0, 0
	v_cmp_ne_u32_e64 s12, 0, v0
	v_cmp_eq_u32_e32 vcc_lo, 0, v124
	s_delay_alu instid0(VALU_DEP_2) | instskip(NEXT) | instid1(SALU_CYCLE_1)
	s_and_b32 s22, s12, vcc_lo
	s_and_saveexec_b32 s12, s22
	s_cbranch_execz .LBB59_32
; %bb.31:                               ;   in Loop: Header=BB59_6 Depth=2
	s_waitcnt lgkmcnt(0)
	v_bcnt_u32_b32 v0, v0, v123
	ds_store_b32 v125, v0
.LBB59_32:                              ;   in Loop: Header=BB59_6 Depth=2
	s_or_b32 exec_lo, exec_lo, s12
	v_lshrrev_b64 v[0:1], s20, v[28:29]
	; wave barrier
	s_delay_alu instid0(VALU_DEP_1)
	v_and_b32_e32 v2, 1, v0
	v_lshlrev_b32_e32 v3, 30, v0
	v_lshlrev_b32_e32 v4, 29, v0
	;; [unrolled: 1-line block ×4, first 2 shown]
	v_add_co_u32 v2, s12, v2, -1
	s_delay_alu instid0(VALU_DEP_1)
	v_cndmask_b32_e64 v6, 0, 1, s12
	v_not_b32_e32 v128, v3
	v_cmp_gt_i32_e64 s12, 0, v3
	v_not_b32_e32 v3, v4
	v_lshlrev_b32_e32 v126, 26, v0
	v_cmp_ne_u32_e32 vcc_lo, 0, v6
	v_ashrrev_i32_e32 v6, 31, v128
	v_lshlrev_b32_e32 v127, 25, v0
	v_ashrrev_i32_e32 v3, 31, v3
	v_and_b32_e32 v1, 0xff, v0
	v_xor_b32_e32 v2, vcc_lo, v2
	v_cmp_gt_i32_e32 vcc_lo, 0, v4
	v_not_b32_e32 v4, v5
	v_xor_b32_e32 v6, s12, v6
	v_cmp_gt_i32_e64 s12, 0, v5
	v_and_b32_e32 v2, exec_lo, v2
	v_not_b32_e32 v5, v7
	v_ashrrev_i32_e32 v4, 31, v4
	v_xor_b32_e32 v3, vcc_lo, v3
	v_cmp_gt_i32_e32 vcc_lo, 0, v7
	v_and_b32_e32 v2, v2, v6
	v_not_b32_e32 v6, v126
	v_ashrrev_i32_e32 v5, 31, v5
	v_xor_b32_e32 v4, s12, v4
	v_lshlrev_b32_e32 v0, 24, v0
	v_and_b32_e32 v2, v2, v3
	v_cmp_gt_i32_e64 s12, 0, v126
	v_not_b32_e32 v3, v127
	v_ashrrev_i32_e32 v6, 31, v6
	v_xor_b32_e32 v5, vcc_lo, v5
	v_and_b32_e32 v2, v2, v4
	v_cmp_gt_i32_e32 vcc_lo, 0, v127
	v_not_b32_e32 v4, v0
	v_ashrrev_i32_e32 v3, 31, v3
	v_xor_b32_e32 v6, s12, v6
	v_and_b32_e32 v2, v2, v5
	v_mul_u32_u24_e32 v1, 10, v1
	v_cmp_gt_i32_e64 s12, 0, v0
	v_ashrrev_i32_e32 v0, 31, v4
	v_xor_b32_e32 v3, vcc_lo, v3
	v_and_b32_e32 v2, v2, v6
	v_add_lshl_u32 v1, v1, v88, 2
	s_delay_alu instid0(VALU_DEP_4) | instskip(NEXT) | instid1(VALU_DEP_3)
	v_xor_b32_e32 v0, s12, v0
	v_and_b32_e32 v2, v2, v3
	ds_load_b32 v126, v1 offset:40
	v_add_nc_u32_e32 v128, 40, v1
	; wave barrier
	v_and_b32_e32 v0, v2, v0
	s_delay_alu instid0(VALU_DEP_1) | instskip(SKIP_1) | instid1(VALU_DEP_2)
	v_mbcnt_lo_u32_b32 v127, v0, 0
	v_cmp_ne_u32_e64 s12, 0, v0
	v_cmp_eq_u32_e32 vcc_lo, 0, v127
	s_delay_alu instid0(VALU_DEP_2) | instskip(NEXT) | instid1(SALU_CYCLE_1)
	s_and_b32 s22, s12, vcc_lo
	s_and_saveexec_b32 s12, s22
	s_cbranch_execz .LBB59_34
; %bb.33:                               ;   in Loop: Header=BB59_6 Depth=2
	s_waitcnt lgkmcnt(0)
	v_bcnt_u32_b32 v0, v0, v126
	ds_store_b32 v128, v0
.LBB59_34:                              ;   in Loop: Header=BB59_6 Depth=2
	s_or_b32 exec_lo, exec_lo, s12
	v_lshrrev_b64 v[0:1], s20, v[26:27]
	; wave barrier
	s_delay_alu instid0(VALU_DEP_1)
	v_and_b32_e32 v2, 1, v0
	v_lshlrev_b32_e32 v3, 30, v0
	v_lshlrev_b32_e32 v4, 29, v0
	;; [unrolled: 1-line block ×4, first 2 shown]
	v_add_co_u32 v2, s12, v2, -1
	s_delay_alu instid0(VALU_DEP_1)
	v_cndmask_b32_e64 v6, 0, 1, s12
	v_not_b32_e32 v131, v3
	v_cmp_gt_i32_e64 s12, 0, v3
	v_not_b32_e32 v3, v4
	v_lshlrev_b32_e32 v129, 26, v0
	v_cmp_ne_u32_e32 vcc_lo, 0, v6
	v_ashrrev_i32_e32 v6, 31, v131
	v_lshlrev_b32_e32 v130, 25, v0
	v_ashrrev_i32_e32 v3, 31, v3
	v_and_b32_e32 v1, 0xff, v0
	v_xor_b32_e32 v2, vcc_lo, v2
	v_cmp_gt_i32_e32 vcc_lo, 0, v4
	v_not_b32_e32 v4, v5
	v_xor_b32_e32 v6, s12, v6
	v_cmp_gt_i32_e64 s12, 0, v5
	v_and_b32_e32 v2, exec_lo, v2
	v_not_b32_e32 v5, v7
	v_ashrrev_i32_e32 v4, 31, v4
	v_xor_b32_e32 v3, vcc_lo, v3
	v_cmp_gt_i32_e32 vcc_lo, 0, v7
	v_and_b32_e32 v2, v2, v6
	v_not_b32_e32 v6, v129
	v_ashrrev_i32_e32 v5, 31, v5
	v_xor_b32_e32 v4, s12, v4
	v_lshlrev_b32_e32 v0, 24, v0
	v_and_b32_e32 v2, v2, v3
	v_cmp_gt_i32_e64 s12, 0, v129
	v_not_b32_e32 v3, v130
	v_ashrrev_i32_e32 v6, 31, v6
	v_xor_b32_e32 v5, vcc_lo, v5
	v_and_b32_e32 v2, v2, v4
	v_cmp_gt_i32_e32 vcc_lo, 0, v130
	v_not_b32_e32 v4, v0
	v_ashrrev_i32_e32 v3, 31, v3
	v_xor_b32_e32 v6, s12, v6
	v_and_b32_e32 v2, v2, v5
	v_mul_u32_u24_e32 v1, 10, v1
	v_cmp_gt_i32_e64 s12, 0, v0
	v_ashrrev_i32_e32 v0, 31, v4
	v_xor_b32_e32 v3, vcc_lo, v3
	v_and_b32_e32 v2, v2, v6
	v_add_lshl_u32 v1, v1, v88, 2
	s_delay_alu instid0(VALU_DEP_4) | instskip(NEXT) | instid1(VALU_DEP_3)
	v_xor_b32_e32 v0, s12, v0
	v_and_b32_e32 v2, v2, v3
	ds_load_b32 v129, v1 offset:40
	v_add_nc_u32_e32 v131, 40, v1
	; wave barrier
	v_and_b32_e32 v0, v2, v0
	s_delay_alu instid0(VALU_DEP_1) | instskip(SKIP_1) | instid1(VALU_DEP_2)
	v_mbcnt_lo_u32_b32 v130, v0, 0
	v_cmp_ne_u32_e64 s12, 0, v0
	v_cmp_eq_u32_e32 vcc_lo, 0, v130
	s_delay_alu instid0(VALU_DEP_2) | instskip(NEXT) | instid1(SALU_CYCLE_1)
	s_and_b32 s22, s12, vcc_lo
	s_and_saveexec_b32 s12, s22
	s_cbranch_execz .LBB59_36
; %bb.35:                               ;   in Loop: Header=BB59_6 Depth=2
	s_waitcnt lgkmcnt(0)
	v_bcnt_u32_b32 v0, v0, v129
	ds_store_b32 v131, v0
.LBB59_36:                              ;   in Loop: Header=BB59_6 Depth=2
	s_or_b32 exec_lo, exec_lo, s12
	v_lshrrev_b64 v[0:1], s20, v[35:36]
	; wave barrier
	s_delay_alu instid0(VALU_DEP_1)
	v_and_b32_e32 v2, 1, v0
	v_lshlrev_b32_e32 v3, 30, v0
	v_lshlrev_b32_e32 v4, 29, v0
	;; [unrolled: 1-line block ×4, first 2 shown]
	v_add_co_u32 v2, s12, v2, -1
	s_delay_alu instid0(VALU_DEP_1)
	v_cndmask_b32_e64 v6, 0, 1, s12
	v_not_b32_e32 v134, v3
	v_cmp_gt_i32_e64 s12, 0, v3
	v_not_b32_e32 v3, v4
	v_lshlrev_b32_e32 v132, 26, v0
	v_cmp_ne_u32_e32 vcc_lo, 0, v6
	v_ashrrev_i32_e32 v6, 31, v134
	v_lshlrev_b32_e32 v133, 25, v0
	v_ashrrev_i32_e32 v3, 31, v3
	v_and_b32_e32 v1, 0xff, v0
	v_xor_b32_e32 v2, vcc_lo, v2
	v_cmp_gt_i32_e32 vcc_lo, 0, v4
	v_not_b32_e32 v4, v5
	v_xor_b32_e32 v6, s12, v6
	v_cmp_gt_i32_e64 s12, 0, v5
	v_and_b32_e32 v2, exec_lo, v2
	v_not_b32_e32 v5, v7
	v_ashrrev_i32_e32 v4, 31, v4
	v_xor_b32_e32 v3, vcc_lo, v3
	v_cmp_gt_i32_e32 vcc_lo, 0, v7
	v_and_b32_e32 v2, v2, v6
	v_not_b32_e32 v6, v132
	v_ashrrev_i32_e32 v5, 31, v5
	v_xor_b32_e32 v4, s12, v4
	v_lshlrev_b32_e32 v0, 24, v0
	v_and_b32_e32 v2, v2, v3
	v_cmp_gt_i32_e64 s12, 0, v132
	v_not_b32_e32 v3, v133
	v_ashrrev_i32_e32 v6, 31, v6
	v_xor_b32_e32 v5, vcc_lo, v5
	v_and_b32_e32 v2, v2, v4
	v_cmp_gt_i32_e32 vcc_lo, 0, v133
	v_not_b32_e32 v4, v0
	v_ashrrev_i32_e32 v3, 31, v3
	v_xor_b32_e32 v6, s12, v6
	v_and_b32_e32 v2, v2, v5
	v_mul_u32_u24_e32 v1, 10, v1
	v_cmp_gt_i32_e64 s12, 0, v0
	v_ashrrev_i32_e32 v0, 31, v4
	v_xor_b32_e32 v3, vcc_lo, v3
	v_and_b32_e32 v2, v2, v6
	v_add_lshl_u32 v1, v1, v88, 2
	s_delay_alu instid0(VALU_DEP_4) | instskip(NEXT) | instid1(VALU_DEP_3)
	v_xor_b32_e32 v0, s12, v0
	v_and_b32_e32 v2, v2, v3
	ds_load_b32 v137, v1 offset:40
	v_add_nc_u32_e32 v132, 40, v1
	; wave barrier
	v_and_b32_e32 v0, v2, v0
	s_delay_alu instid0(VALU_DEP_1) | instskip(SKIP_1) | instid1(VALU_DEP_2)
	v_mbcnt_lo_u32_b32 v138, v0, 0
	v_cmp_ne_u32_e64 s12, 0, v0
	v_cmp_eq_u32_e32 vcc_lo, 0, v138
	s_delay_alu instid0(VALU_DEP_2) | instskip(NEXT) | instid1(SALU_CYCLE_1)
	s_and_b32 s22, s12, vcc_lo
	s_and_saveexec_b32 s12, s22
	s_cbranch_execz .LBB59_38
; %bb.37:                               ;   in Loop: Header=BB59_6 Depth=2
	s_waitcnt lgkmcnt(0)
	v_bcnt_u32_b32 v0, v0, v137
	ds_store_b32 v132, v0
.LBB59_38:                              ;   in Loop: Header=BB59_6 Depth=2
	s_or_b32 exec_lo, exec_lo, s12
	; wave barrier
	s_waitcnt lgkmcnt(0)
	s_barrier
	buffer_gl0_inv
	ds_load_2addr_b64 v[4:7], v83 offset0:5 offset1:6
	ds_load_2addr_b64 v[0:3], v87 offset0:2 offset1:3
	s_waitcnt lgkmcnt(1)
	v_add_nc_u32_e32 v133, v5, v4
	s_delay_alu instid0(VALU_DEP_1) | instskip(SKIP_1) | instid1(VALU_DEP_1)
	v_add3_u32 v133, v133, v6, v7
	s_waitcnt lgkmcnt(0)
	v_add3_u32 v133, v133, v0, v1
	s_delay_alu instid0(VALU_DEP_1) | instskip(NEXT) | instid1(VALU_DEP_1)
	v_add3_u32 v3, v133, v2, v3
	v_mov_b32_dpp v133, v3 row_shr:1 row_mask:0xf bank_mask:0xf
	s_delay_alu instid0(VALU_DEP_1) | instskip(NEXT) | instid1(VALU_DEP_1)
	v_cndmask_b32_e64 v133, v133, 0, s1
	v_add_nc_u32_e32 v3, v133, v3
	s_delay_alu instid0(VALU_DEP_1) | instskip(NEXT) | instid1(VALU_DEP_1)
	v_mov_b32_dpp v133, v3 row_shr:2 row_mask:0xf bank_mask:0xf
	v_cndmask_b32_e64 v133, 0, v133, s2
	s_delay_alu instid0(VALU_DEP_1) | instskip(NEXT) | instid1(VALU_DEP_1)
	v_add_nc_u32_e32 v3, v3, v133
	v_mov_b32_dpp v133, v3 row_shr:4 row_mask:0xf bank_mask:0xf
	s_delay_alu instid0(VALU_DEP_1) | instskip(NEXT) | instid1(VALU_DEP_1)
	v_cndmask_b32_e64 v133, 0, v133, s3
	v_add_nc_u32_e32 v3, v3, v133
	s_delay_alu instid0(VALU_DEP_1) | instskip(NEXT) | instid1(VALU_DEP_1)
	v_mov_b32_dpp v133, v3 row_shr:8 row_mask:0xf bank_mask:0xf
	v_cndmask_b32_e64 v133, 0, v133, s4
	s_delay_alu instid0(VALU_DEP_1) | instskip(SKIP_3) | instid1(VALU_DEP_1)
	v_add_nc_u32_e32 v3, v3, v133
	ds_swizzle_b32 v133, v3 offset:swizzle(BROADCAST,32,15)
	s_waitcnt lgkmcnt(0)
	v_cndmask_b32_e64 v133, v133, 0, s5
	v_add_nc_u32_e32 v3, v3, v133
	s_and_saveexec_b32 s12, s6
	s_cbranch_execz .LBB59_40
; %bb.39:                               ;   in Loop: Header=BB59_6 Depth=2
	ds_store_b32 v91, v3
.LBB59_40:                              ;   in Loop: Header=BB59_6 Depth=2
	s_or_b32 exec_lo, exec_lo, s12
	s_waitcnt lgkmcnt(0)
	s_barrier
	buffer_gl0_inv
	s_and_saveexec_b32 s12, s7
	s_cbranch_execz .LBB59_42
; %bb.41:                               ;   in Loop: Header=BB59_6 Depth=2
	ds_load_b32 v133, v110
	s_waitcnt lgkmcnt(0)
	v_mov_b32_dpp v134, v133 row_shr:1 row_mask:0xf bank_mask:0xf
	s_delay_alu instid0(VALU_DEP_1) | instskip(NEXT) | instid1(VALU_DEP_1)
	v_cndmask_b32_e64 v134, v134, 0, s1
	v_add_nc_u32_e32 v133, v134, v133
	s_delay_alu instid0(VALU_DEP_1) | instskip(NEXT) | instid1(VALU_DEP_1)
	v_mov_b32_dpp v134, v133 row_shr:2 row_mask:0xf bank_mask:0xf
	v_cndmask_b32_e64 v134, 0, v134, s2
	s_delay_alu instid0(VALU_DEP_1) | instskip(NEXT) | instid1(VALU_DEP_1)
	v_add_nc_u32_e32 v133, v133, v134
	v_mov_b32_dpp v134, v133 row_shr:4 row_mask:0xf bank_mask:0xf
	s_delay_alu instid0(VALU_DEP_1) | instskip(NEXT) | instid1(VALU_DEP_1)
	v_cndmask_b32_e64 v134, 0, v134, s3
	v_add_nc_u32_e32 v133, v133, v134
	s_delay_alu instid0(VALU_DEP_1) | instskip(NEXT) | instid1(VALU_DEP_1)
	v_mov_b32_dpp v134, v133 row_shr:8 row_mask:0xf bank_mask:0xf
	v_cndmask_b32_e64 v134, 0, v134, s4
	s_delay_alu instid0(VALU_DEP_1)
	v_add_nc_u32_e32 v133, v133, v134
	ds_store_b32 v110, v133
.LBB59_42:                              ;   in Loop: Header=BB59_6 Depth=2
	s_or_b32 exec_lo, exec_lo, s12
	v_mov_b32_e32 v133, 0
	s_waitcnt lgkmcnt(0)
	s_barrier
	buffer_gl0_inv
	s_and_saveexec_b32 s12, s8
	s_cbranch_execz .LBB59_44
; %bb.43:                               ;   in Loop: Header=BB59_6 Depth=2
	ds_load_b32 v133, v92
.LBB59_44:                              ;   in Loop: Header=BB59_6 Depth=2
	s_or_b32 exec_lo, exec_lo, s12
	s_waitcnt lgkmcnt(0)
	v_add_nc_u32_e32 v3, v133, v3
	s_cmp_gt_u32 s20, 55
	ds_bpermute_b32 v3, v90, v3
	s_waitcnt lgkmcnt(0)
	v_cndmask_b32_e64 v3, v3, v133, s9
	s_delay_alu instid0(VALU_DEP_1) | instskip(NEXT) | instid1(VALU_DEP_1)
	v_cndmask_b32_e64 v3, v3, 0, s10
	v_add_nc_u32_e32 v4, v3, v4
	s_delay_alu instid0(VALU_DEP_1) | instskip(NEXT) | instid1(VALU_DEP_1)
	v_add_nc_u32_e32 v5, v4, v5
	v_add_nc_u32_e32 v6, v5, v6
	s_delay_alu instid0(VALU_DEP_1) | instskip(NEXT) | instid1(VALU_DEP_1)
	v_add_nc_u32_e32 v133, v6, v7
	;; [unrolled: 3-line block ×3, first 2 shown]
	v_add_nc_u32_e32 v1, v0, v2
	ds_store_2addr_b64 v83, v[3:4], v[5:6] offset0:5 offset1:6
	ds_store_2addr_b64 v87, v[133:134], v[0:1] offset0:2 offset1:3
	s_waitcnt lgkmcnt(0)
	s_barrier
	buffer_gl0_inv
	ds_load_b32 v0, v43
	ds_load_b32 v1, v46
	;; [unrolled: 1-line block ×16, first 2 shown]
	s_waitcnt lgkmcnt(15)
	v_add_nc_u32_e32 v136, v0, v32
	s_waitcnt lgkmcnt(14)
	v_add3_u32 v131, v45, v44, v1
	s_waitcnt lgkmcnt(13)
	v_add3_u32 v132, v48, v47, v2
	;; [unrolled: 2-line block ×15, first 2 shown]
	s_cbranch_scc0 .LBB59_5
; %bb.45:                               ;   in Loop: Header=BB59_2 Depth=1
                                        ; implicit-def: $vgpr51_vgpr52
                                        ; implicit-def: $vgpr53_vgpr54
                                        ; implicit-def: $vgpr55_vgpr56
                                        ; implicit-def: $vgpr57_vgpr58
                                        ; implicit-def: $vgpr59_vgpr60
                                        ; implicit-def: $vgpr61_vgpr62
                                        ; implicit-def: $vgpr63_vgpr64
                                        ; implicit-def: $vgpr65_vgpr66
                                        ; implicit-def: $vgpr4_vgpr5
                                        ; implicit-def: $vgpr0_vgpr1
                                        ; implicit-def: $vgpr2_vgpr3
                                        ; implicit-def: $vgpr43_vgpr44
                                        ; implicit-def: $vgpr6_vgpr7
                                        ; implicit-def: $vgpr45_vgpr46
                                        ; implicit-def: $vgpr49_vgpr50
                                        ; implicit-def: $vgpr47_vgpr48
                                        ; implicit-def: $sgpr20_sgpr21
.LBB59_46:                              ;   in Loop: Header=BB59_2 Depth=1
	v_lshrrev_b32_e32 v0, 2, v136
	v_lshrrev_b32_e32 v1, 2, v131
	;; [unrolled: 1-line block ×5, first 2 shown]
	v_and_b32_e32 v0, 0x3ffffff8, v0
	v_lshrrev_b32_e32 v5, 2, v135
	v_and_b32_e32 v1, 0x3ffffff8, v1
	v_and_b32_e32 v2, 0x3ffffff8, v2
	;; [unrolled: 1-line block ×3, first 2 shown]
	v_lshl_add_u32 v0, v136, 3, v0
	v_and_b32_e32 v4, 0x3ffffff8, v4
	s_barrier
	buffer_gl0_inv
	ds_store_b64 v0, v[22:23]
	v_and_b32_e32 v0, 0x3ffffff8, v5
	v_lshl_add_u32 v1, v131, 3, v1
	v_lshl_add_u32 v2, v132, 3, v2
	;; [unrolled: 1-line block ×5, first 2 shown]
	ds_store_b64 v1, v[14:15]
	ds_store_b64 v2, v[12:13]
	ds_store_b64 v3, v[20:21]
	ds_store_b64 v4, v[18:19]
	ds_store_b64 v0, v[16:17]
	v_lshrrev_b32_e32 v0, 2, v119
	v_lshrrev_b32_e32 v1, 2, v122
	;; [unrolled: 1-line block ×5, first 2 shown]
	v_and_b32_e32 v0, 0x3ffffff8, v0
	v_and_b32_e32 v1, 0x3ffffff8, v1
	;; [unrolled: 1-line block ×5, first 2 shown]
	v_lshl_add_u32 v0, v119, 3, v0
	v_lshl_add_u32 v1, v122, 3, v1
	;; [unrolled: 1-line block ×5, first 2 shown]
	ds_store_b64 v0, v[10:11]
	ds_store_b64 v1, v[8:9]
	;; [unrolled: 1-line block ×5, first 2 shown]
	v_lshrrev_b32_e32 v0, 2, v32
	v_lshrrev_b32_e32 v1, 2, v113
	;; [unrolled: 1-line block ×5, first 2 shown]
	v_and_b32_e32 v0, 0x3ffffff8, v0
	v_and_b32_e32 v1, 0x3ffffff8, v1
	v_and_b32_e32 v2, 0x3ffffff8, v2
	v_and_b32_e32 v3, 0x3ffffff8, v3
	v_and_b32_e32 v4, 0x3ffffff8, v4
	v_lshl_add_u32 v0, v32, 3, v0
	v_lshl_add_u32 v1, v113, 3, v1
	;; [unrolled: 1-line block ×5, first 2 shown]
	ds_store_b64 v0, v[24:25]
	ds_store_b64 v1, v[30:31]
	;; [unrolled: 1-line block ×5, first 2 shown]
	s_waitcnt lgkmcnt(0)
	s_barrier
	buffer_gl0_inv
	ds_load_2addr_b64 v[25:28], v93 offset1:1
	ds_load_2addr_b64 v[17:20], v93 offset0:2 offset1:3
	ds_load_2addr_b64 v[9:12], v93 offset0:4 offset1:5
	;; [unrolled: 1-line block ×7, first 2 shown]
	s_waitcnt lgkmcnt(0)
	s_barrier
	buffer_gl0_inv
	s_and_saveexec_b32 s12, s0
	s_cbranch_execz .LBB59_48
; %bb.47:                               ;   in Loop: Header=BB59_2 Depth=1
	ds_store_2addr_stride64_b32 v112, v111, v111 offset0:20 offset1:25
.LBB59_48:                              ;   in Loop: Header=BB59_2 Depth=1
	s_or_b32 exec_lo, exec_lo, s12
	v_lshlrev_b32_e32 v35, 2, v5
	s_mov_b32 s12, exec_lo
	s_waitcnt lgkmcnt(0)
	s_barrier
	buffer_gl0_inv
	ds_store_b64 v86, v[7:8]
	v_cmpx_ne_u32_e64 v5, v7
	s_cbranch_execz .LBB59_50
; %bb.49:                               ;   in Loop: Header=BB59_2 Depth=1
	v_lshlrev_b32_e32 v0, 2, v7
	ds_store_b32 v0, v94 offset:5120
	ds_store_b32 v35, v94 offset:6400
.LBB59_50:                              ;   in Loop: Header=BB59_2 Depth=1
	s_or_b32 exec_lo, exec_lo, s12
	v_lshlrev_b32_e32 v36, 2, v15
	v_mov_b32_e32 v0, v5
	s_mov_b32 s12, exec_lo
	v_cmpx_ne_u32_e64 v5, v15
	s_cbranch_execz .LBB59_52
; %bb.51:                               ;   in Loop: Header=BB59_2 Depth=1
	v_mov_b32_e32 v0, v15
	ds_store_b32 v35, v95 offset:5120
	ds_store_b32 v36, v95 offset:6400
.LBB59_52:                              ;   in Loop: Header=BB59_2 Depth=1
	s_or_b32 exec_lo, exec_lo, s12
	v_lshlrev_b32_e32 v35, 2, v13
	s_mov_b32 s12, exec_lo
	v_cmpx_ne_u32_e64 v0, v13
	s_cbranch_execz .LBB59_54
; %bb.53:                               ;   in Loop: Header=BB59_2 Depth=1
	v_mov_b32_e32 v0, v13
	ds_store_b32 v36, v96 offset:5120
	ds_store_b32 v35, v96 offset:6400
.LBB59_54:                              ;   in Loop: Header=BB59_2 Depth=1
	s_or_b32 exec_lo, exec_lo, s12
	v_lshlrev_b32_e32 v36, 2, v23
	;; [unrolled: 10-line block ×12, first 2 shown]
	s_mov_b32 s12, exec_lo
	v_cmpx_ne_u32_e64 v0, v27
	s_cbranch_execz .LBB59_76
; %bb.75:                               ;   in Loop: Header=BB59_2 Depth=1
	v_mov_b32_e32 v0, v27
	ds_store_b32 v35, v107 offset:5120
	ds_store_b32 v36, v107 offset:6400
.LBB59_76:                              ;   in Loop: Header=BB59_2 Depth=1
	s_or_b32 exec_lo, exec_lo, s12
	v_cmp_ne_u32_e32 vcc_lo, v0, v25
	v_lshlrev_b32_e32 v0, 2, v25
	s_and_saveexec_b32 s12, vcc_lo
	s_cbranch_execz .LBB59_78
; %bb.77:                               ;   in Loop: Header=BB59_2 Depth=1
	ds_store_b32 v36, v108 offset:5120
	ds_store_b32 v0, v108 offset:6400
.LBB59_78:                              ;   in Loop: Header=BB59_2 Depth=1
	s_or_b32 exec_lo, exec_lo, s12
	s_waitcnt lgkmcnt(0)
	s_barrier
	buffer_gl0_inv
	s_and_saveexec_b32 s12, s11
	s_cbranch_execz .LBB59_81
; %bb.79:                               ;   in Loop: Header=BB59_2 Depth=1
	ds_load_b32 v35, v109
	s_waitcnt lgkmcnt(0)
	v_cmp_ne_u32_e32 vcc_lo, v35, v25
	s_and_b32 exec_lo, exec_lo, vcc_lo
	s_cbranch_execz .LBB59_81
; %bb.80:                               ;   in Loop: Header=BB59_2 Depth=1
	ds_store_b32 v0, v67 offset:5120
	ds_load_b32 v35, v109
	s_waitcnt lgkmcnt(0)
	v_lshlrev_b32_e32 v35, 2, v35
	ds_store_b32 v35, v67 offset:6400
.LBB59_81:                              ;   in Loop: Header=BB59_2 Depth=1
	s_or_b32 exec_lo, exec_lo, s12
	s_waitcnt lgkmcnt(0)
	s_barrier
	buffer_gl0_inv
	s_and_saveexec_b32 s12, s10
	s_cbranch_execz .LBB59_83
; %bb.82:                               ;   in Loop: Header=BB59_2 Depth=1
	ds_store_b32 v0, v34 offset:5120
.LBB59_83:                              ;   in Loop: Header=BB59_2 Depth=1
	s_or_b32 exec_lo, exec_lo, s12
	s_waitcnt lgkmcnt(0)
	s_barrier
	buffer_gl0_inv
	s_and_saveexec_b32 s12, s0
	s_cbranch_execz .LBB59_1
; %bb.84:                               ;   in Loop: Header=BB59_2 Depth=1
	ds_load_2addr_stride64_b32 v[35:36], v112 offset0:20 offset1:25
	ds_load_b64 v[37:38], v89
	s_waitcnt lgkmcnt(1)
	v_sub_nc_u32_e32 v0, v36, v35
	s_waitcnt lgkmcnt(0)
	s_delay_alu instid0(VALU_DEP_1)
	v_add_co_u32 v35, vcc_lo, v37, v0
	v_add_co_ci_u32_e32 v36, vcc_lo, 0, v38, vcc_lo
	ds_store_b64 v89, v[35:36]
	s_branch .LBB59_1
.LBB59_85:
	s_and_saveexec_b32 s1, s0
	s_cbranch_execz .LBB59_87
; %bb.86:
	ds_load_b64 v[0:1], v89
	v_mov_b32_e32 v34, 0
	s_delay_alu instid0(VALU_DEP_1) | instskip(NEXT) | instid1(VALU_DEP_1)
	v_lshlrev_b64 v[2:3], 3, v[33:34]
	v_add_co_u32 v2, vcc_lo, s18, v2
	s_delay_alu instid0(VALU_DEP_2)
	v_add_co_ci_u32_e32 v3, vcc_lo, s19, v3, vcc_lo
	s_waitcnt lgkmcnt(0)
	global_store_b64 v[2:3], v[0:1], off
.LBB59_87:
	s_nop 0
	s_sendmsg sendmsg(MSG_DEALLOC_VGPRS)
	s_endpgm
	.section	.rodata,"a",@progbits
	.p2align	6, 0x0
	.amdhsa_kernel _Z6kernelI9histogramILN6hipcub23BlockHistogramAlgorithmE1EEyLj320ELj16ELj320ELj100EEvPKT0_PS4_
		.amdhsa_group_segment_fixed_size 44800
		.amdhsa_private_segment_fixed_size 0
		.amdhsa_kernarg_size 272
		.amdhsa_user_sgpr_count 15
		.amdhsa_user_sgpr_dispatch_ptr 0
		.amdhsa_user_sgpr_queue_ptr 0
		.amdhsa_user_sgpr_kernarg_segment_ptr 1
		.amdhsa_user_sgpr_dispatch_id 0
		.amdhsa_user_sgpr_private_segment_size 0
		.amdhsa_wavefront_size32 1
		.amdhsa_uses_dynamic_stack 0
		.amdhsa_enable_private_segment 0
		.amdhsa_system_sgpr_workgroup_id_x 1
		.amdhsa_system_sgpr_workgroup_id_y 0
		.amdhsa_system_sgpr_workgroup_id_z 0
		.amdhsa_system_sgpr_workgroup_info 0
		.amdhsa_system_vgpr_workitem_id 2
		.amdhsa_next_free_vgpr 139
		.amdhsa_next_free_sgpr 23
		.amdhsa_reserve_vcc 1
		.amdhsa_float_round_mode_32 0
		.amdhsa_float_round_mode_16_64 0
		.amdhsa_float_denorm_mode_32 3
		.amdhsa_float_denorm_mode_16_64 3
		.amdhsa_dx10_clamp 1
		.amdhsa_ieee_mode 1
		.amdhsa_fp16_overflow 0
		.amdhsa_workgroup_processor_mode 1
		.amdhsa_memory_ordered 1
		.amdhsa_forward_progress 0
		.amdhsa_shared_vgpr_count 0
		.amdhsa_exception_fp_ieee_invalid_op 0
		.amdhsa_exception_fp_denorm_src 0
		.amdhsa_exception_fp_ieee_div_zero 0
		.amdhsa_exception_fp_ieee_overflow 0
		.amdhsa_exception_fp_ieee_underflow 0
		.amdhsa_exception_fp_ieee_inexact 0
		.amdhsa_exception_int_div_zero 0
	.end_amdhsa_kernel
	.section	.text._Z6kernelI9histogramILN6hipcub23BlockHistogramAlgorithmE1EEyLj320ELj16ELj320ELj100EEvPKT0_PS4_,"axG",@progbits,_Z6kernelI9histogramILN6hipcub23BlockHistogramAlgorithmE1EEyLj320ELj16ELj320ELj100EEvPKT0_PS4_,comdat
.Lfunc_end59:
	.size	_Z6kernelI9histogramILN6hipcub23BlockHistogramAlgorithmE1EEyLj320ELj16ELj320ELj100EEvPKT0_PS4_, .Lfunc_end59-_Z6kernelI9histogramILN6hipcub23BlockHistogramAlgorithmE1EEyLj320ELj16ELj320ELj100EEvPKT0_PS4_
                                        ; -- End function
	.section	.AMDGPU.csdata,"",@progbits
; Kernel info:
; codeLenInByte = 9636
; NumSgprs: 25
; NumVgprs: 139
; ScratchSize: 0
; MemoryBound: 0
; FloatMode: 240
; IeeeMode: 1
; LDSByteSize: 44800 bytes/workgroup (compile time only)
; SGPRBlocks: 3
; VGPRBlocks: 17
; NumSGPRsForWavesPerEU: 25
; NumVGPRsForWavesPerEU: 139
; Occupancy: 5
; WaveLimiterHint : 0
; COMPUTE_PGM_RSRC2:SCRATCH_EN: 0
; COMPUTE_PGM_RSRC2:USER_SGPR: 15
; COMPUTE_PGM_RSRC2:TRAP_HANDLER: 0
; COMPUTE_PGM_RSRC2:TGID_X_EN: 1
; COMPUTE_PGM_RSRC2:TGID_Y_EN: 0
; COMPUTE_PGM_RSRC2:TGID_Z_EN: 0
; COMPUTE_PGM_RSRC2:TIDIG_COMP_CNT: 2
	.text
	.p2alignl 7, 3214868480
	.fill 96, 4, 3214868480
	.type	__hip_cuid_98fa180a4afa75d2,@object ; @__hip_cuid_98fa180a4afa75d2
	.section	.bss,"aw",@nobits
	.globl	__hip_cuid_98fa180a4afa75d2
__hip_cuid_98fa180a4afa75d2:
	.byte	0                               ; 0x0
	.size	__hip_cuid_98fa180a4afa75d2, 1

	.ident	"AMD clang version 19.0.0git (https://github.com/RadeonOpenCompute/llvm-project roc-6.4.0 25133 c7fe45cf4b819c5991fe208aaa96edf142730f1d)"
	.section	".note.GNU-stack","",@progbits
	.addrsig
	.addrsig_sym __hip_cuid_98fa180a4afa75d2
	.amdgpu_metadata
---
amdhsa.kernels:
  - .args:
      - .address_space:  global
        .offset:         0
        .size:           8
        .value_kind:     global_buffer
      - .address_space:  global
        .offset:         8
        .size:           8
        .value_kind:     global_buffer
    .group_segment_fixed_size: 1024
    .kernarg_segment_align: 8
    .kernarg_segment_size: 16
    .language:       OpenCL C
    .language_version:
      - 2
      - 0
    .max_flat_workgroup_size: 256
    .name:           _Z6kernelI9histogramILN6hipcub23BlockHistogramAlgorithmE0EEiLj256ELj1ELj256ELj100EEvPKT0_PS4_
    .private_segment_fixed_size: 0
    .sgpr_count:     18
    .sgpr_spill_count: 0
    .symbol:         _Z6kernelI9histogramILN6hipcub23BlockHistogramAlgorithmE0EEiLj256ELj1ELj256ELj100EEvPKT0_PS4_.kd
    .uniform_work_group_size: 1
    .uses_dynamic_stack: false
    .vgpr_count:     23
    .vgpr_spill_count: 0
    .wavefront_size: 32
    .workgroup_processor_mode: 1
  - .args:
      - .address_space:  global
        .offset:         0
        .size:           8
        .value_kind:     global_buffer
      - .address_space:  global
        .offset:         8
        .size:           8
        .value_kind:     global_buffer
    .group_segment_fixed_size: 1024
    .kernarg_segment_align: 8
    .kernarg_segment_size: 16
    .language:       OpenCL C
    .language_version:
      - 2
      - 0
    .max_flat_workgroup_size: 256
    .name:           _Z6kernelI9histogramILN6hipcub23BlockHistogramAlgorithmE0EEiLj256ELj2ELj256ELj100EEvPKT0_PS4_
    .private_segment_fixed_size: 0
    .sgpr_count:     18
    .sgpr_spill_count: 0
    .symbol:         _Z6kernelI9histogramILN6hipcub23BlockHistogramAlgorithmE0EEiLj256ELj2ELj256ELj100EEvPKT0_PS4_.kd
    .uniform_work_group_size: 1
    .uses_dynamic_stack: false
    .vgpr_count:     40
    .vgpr_spill_count: 0
    .wavefront_size: 32
    .workgroup_processor_mode: 1
  - .args:
      - .address_space:  global
        .offset:         0
        .size:           8
        .value_kind:     global_buffer
      - .address_space:  global
        .offset:         8
        .size:           8
        .value_kind:     global_buffer
    .group_segment_fixed_size: 1024
    .kernarg_segment_align: 8
    .kernarg_segment_size: 16
    .language:       OpenCL C
    .language_version:
      - 2
      - 0
    .max_flat_workgroup_size: 256
    .name:           _Z6kernelI9histogramILN6hipcub23BlockHistogramAlgorithmE0EEiLj256ELj3ELj256ELj100EEvPKT0_PS4_
    .private_segment_fixed_size: 0
    .sgpr_count:     18
    .sgpr_spill_count: 0
    .symbol:         _Z6kernelI9histogramILN6hipcub23BlockHistogramAlgorithmE0EEiLj256ELj3ELj256ELj100EEvPKT0_PS4_.kd
    .uniform_work_group_size: 1
    .uses_dynamic_stack: false
    .vgpr_count:     57
    .vgpr_spill_count: 0
    .wavefront_size: 32
    .workgroup_processor_mode: 1
  - .args:
      - .address_space:  global
        .offset:         0
        .size:           8
        .value_kind:     global_buffer
      - .address_space:  global
        .offset:         8
        .size:           8
        .value_kind:     global_buffer
    .group_segment_fixed_size: 1024
    .kernarg_segment_align: 8
    .kernarg_segment_size: 16
    .language:       OpenCL C
    .language_version:
      - 2
      - 0
    .max_flat_workgroup_size: 256
    .name:           _Z6kernelI9histogramILN6hipcub23BlockHistogramAlgorithmE0EEiLj256ELj4ELj256ELj100EEvPKT0_PS4_
    .private_segment_fixed_size: 0
    .sgpr_count:     22
    .sgpr_spill_count: 0
    .symbol:         _Z6kernelI9histogramILN6hipcub23BlockHistogramAlgorithmE0EEiLj256ELj4ELj256ELj100EEvPKT0_PS4_.kd
    .uniform_work_group_size: 1
    .uses_dynamic_stack: false
    .vgpr_count:     68
    .vgpr_spill_count: 0
    .wavefront_size: 32
    .workgroup_processor_mode: 1
  - .args:
      - .address_space:  global
        .offset:         0
        .size:           8
        .value_kind:     global_buffer
      - .address_space:  global
        .offset:         8
        .size:           8
        .value_kind:     global_buffer
    .group_segment_fixed_size: 1024
    .kernarg_segment_align: 8
    .kernarg_segment_size: 16
    .language:       OpenCL C
    .language_version:
      - 2
      - 0
    .max_flat_workgroup_size: 256
    .name:           _Z6kernelI9histogramILN6hipcub23BlockHistogramAlgorithmE0EEiLj256ELj8ELj256ELj100EEvPKT0_PS4_
    .private_segment_fixed_size: 0
    .sgpr_count:     73
    .sgpr_spill_count: 0
    .symbol:         _Z6kernelI9histogramILN6hipcub23BlockHistogramAlgorithmE0EEiLj256ELj8ELj256ELj100EEvPKT0_PS4_.kd
    .uniform_work_group_size: 1
    .uses_dynamic_stack: false
    .vgpr_count:     124
    .vgpr_spill_count: 0
    .wavefront_size: 32
    .workgroup_processor_mode: 1
  - .args:
      - .address_space:  global
        .offset:         0
        .size:           8
        .value_kind:     global_buffer
      - .address_space:  global
        .offset:         8
        .size:           8
        .value_kind:     global_buffer
    .group_segment_fixed_size: 1024
    .kernarg_segment_align: 8
    .kernarg_segment_size: 16
    .language:       OpenCL C
    .language_version:
      - 2
      - 0
    .max_flat_workgroup_size: 256
    .name:           _Z6kernelI9histogramILN6hipcub23BlockHistogramAlgorithmE0EEiLj256ELj16ELj256ELj100EEvPKT0_PS4_
    .private_segment_fixed_size: 0
    .sgpr_count:     107
    .sgpr_spill_count: 31
    .symbol:         _Z6kernelI9histogramILN6hipcub23BlockHistogramAlgorithmE0EEiLj256ELj16ELj256ELj100EEvPKT0_PS4_.kd
    .uniform_work_group_size: 1
    .uses_dynamic_stack: false
    .vgpr_count:     165
    .vgpr_spill_count: 0
    .wavefront_size: 32
    .workgroup_processor_mode: 1
  - .args:
      - .address_space:  global
        .offset:         0
        .size:           8
        .value_kind:     global_buffer
      - .address_space:  global
        .offset:         8
        .size:           8
        .value_kind:     global_buffer
    .group_segment_fixed_size: 1280
    .kernarg_segment_align: 8
    .kernarg_segment_size: 16
    .language:       OpenCL C
    .language_version:
      - 2
      - 0
    .max_flat_workgroup_size: 320
    .name:           _Z6kernelI9histogramILN6hipcub23BlockHistogramAlgorithmE0EEiLj320ELj1ELj320ELj100EEvPKT0_PS4_
    .private_segment_fixed_size: 0
    .sgpr_count:     18
    .sgpr_spill_count: 0
    .symbol:         _Z6kernelI9histogramILN6hipcub23BlockHistogramAlgorithmE0EEiLj320ELj1ELj320ELj100EEvPKT0_PS4_.kd
    .uniform_work_group_size: 1
    .uses_dynamic_stack: false
    .vgpr_count:     26
    .vgpr_spill_count: 0
    .wavefront_size: 32
    .workgroup_processor_mode: 1
  - .args:
      - .address_space:  global
        .offset:         0
        .size:           8
        .value_kind:     global_buffer
      - .address_space:  global
        .offset:         8
        .size:           8
        .value_kind:     global_buffer
    .group_segment_fixed_size: 1280
    .kernarg_segment_align: 8
    .kernarg_segment_size: 16
    .language:       OpenCL C
    .language_version:
      - 2
      - 0
    .max_flat_workgroup_size: 320
    .name:           _Z6kernelI9histogramILN6hipcub23BlockHistogramAlgorithmE0EEiLj320ELj2ELj320ELj100EEvPKT0_PS4_
    .private_segment_fixed_size: 0
    .sgpr_count:     18
    .sgpr_spill_count: 0
    .symbol:         _Z6kernelI9histogramILN6hipcub23BlockHistogramAlgorithmE0EEiLj320ELj2ELj320ELj100EEvPKT0_PS4_.kd
    .uniform_work_group_size: 1
    .uses_dynamic_stack: false
    .vgpr_count:     44
    .vgpr_spill_count: 0
    .wavefront_size: 32
    .workgroup_processor_mode: 1
  - .args:
      - .address_space:  global
        .offset:         0
        .size:           8
        .value_kind:     global_buffer
      - .address_space:  global
        .offset:         8
        .size:           8
        .value_kind:     global_buffer
    .group_segment_fixed_size: 1280
    .kernarg_segment_align: 8
    .kernarg_segment_size: 16
    .language:       OpenCL C
    .language_version:
      - 2
      - 0
    .max_flat_workgroup_size: 320
    .name:           _Z6kernelI9histogramILN6hipcub23BlockHistogramAlgorithmE0EEiLj320ELj3ELj320ELj100EEvPKT0_PS4_
    .private_segment_fixed_size: 0
    .sgpr_count:     18
    .sgpr_spill_count: 0
    .symbol:         _Z6kernelI9histogramILN6hipcub23BlockHistogramAlgorithmE0EEiLj320ELj3ELj320ELj100EEvPKT0_PS4_.kd
    .uniform_work_group_size: 1
    .uses_dynamic_stack: false
    .vgpr_count:     60
    .vgpr_spill_count: 0
    .wavefront_size: 32
    .workgroup_processor_mode: 1
  - .args:
      - .address_space:  global
        .offset:         0
        .size:           8
        .value_kind:     global_buffer
      - .address_space:  global
        .offset:         8
        .size:           8
        .value_kind:     global_buffer
    .group_segment_fixed_size: 1280
    .kernarg_segment_align: 8
    .kernarg_segment_size: 16
    .language:       OpenCL C
    .language_version:
      - 2
      - 0
    .max_flat_workgroup_size: 320
    .name:           _Z6kernelI9histogramILN6hipcub23BlockHistogramAlgorithmE0EEiLj320ELj4ELj320ELj100EEvPKT0_PS4_
    .private_segment_fixed_size: 0
    .sgpr_count:     33
    .sgpr_spill_count: 0
    .symbol:         _Z6kernelI9histogramILN6hipcub23BlockHistogramAlgorithmE0EEiLj320ELj4ELj320ELj100EEvPKT0_PS4_.kd
    .uniform_work_group_size: 1
    .uses_dynamic_stack: false
    .vgpr_count:     76
    .vgpr_spill_count: 0
    .wavefront_size: 32
    .workgroup_processor_mode: 1
  - .args:
      - .address_space:  global
        .offset:         0
        .size:           8
        .value_kind:     global_buffer
      - .address_space:  global
        .offset:         8
        .size:           8
        .value_kind:     global_buffer
    .group_segment_fixed_size: 1280
    .kernarg_segment_align: 8
    .kernarg_segment_size: 16
    .language:       OpenCL C
    .language_version:
      - 2
      - 0
    .max_flat_workgroup_size: 320
    .name:           _Z6kernelI9histogramILN6hipcub23BlockHistogramAlgorithmE0EEiLj320ELj8ELj320ELj100EEvPKT0_PS4_
    .private_segment_fixed_size: 0
    .sgpr_count:     80
    .sgpr_spill_count: 0
    .symbol:         _Z6kernelI9histogramILN6hipcub23BlockHistogramAlgorithmE0EEiLj320ELj8ELj320ELj100EEvPKT0_PS4_.kd
    .uniform_work_group_size: 1
    .uses_dynamic_stack: false
    .vgpr_count:     132
    .vgpr_spill_count: 0
    .wavefront_size: 32
    .workgroup_processor_mode: 1
  - .args:
      - .address_space:  global
        .offset:         0
        .size:           8
        .value_kind:     global_buffer
      - .address_space:  global
        .offset:         8
        .size:           8
        .value_kind:     global_buffer
    .group_segment_fixed_size: 1280
    .kernarg_segment_align: 8
    .kernarg_segment_size: 16
    .language:       OpenCL C
    .language_version:
      - 2
      - 0
    .max_flat_workgroup_size: 320
    .name:           _Z6kernelI9histogramILN6hipcub23BlockHistogramAlgorithmE0EEiLj320ELj16ELj320ELj100EEvPKT0_PS4_
    .private_segment_fixed_size: 0
    .sgpr_count:     107
    .sgpr_spill_count: 46
    .symbol:         _Z6kernelI9histogramILN6hipcub23BlockHistogramAlgorithmE0EEiLj320ELj16ELj320ELj100EEvPKT0_PS4_.kd
    .uniform_work_group_size: 1
    .uses_dynamic_stack: false
    .vgpr_count:     169
    .vgpr_spill_count: 0
    .wavefront_size: 32
    .workgroup_processor_mode: 1
  - .args:
      - .address_space:  global
        .offset:         0
        .size:           8
        .value_kind:     global_buffer
      - .address_space:  global
        .offset:         8
        .size:           8
        .value_kind:     global_buffer
    .group_segment_fixed_size: 2048
    .kernarg_segment_align: 8
    .kernarg_segment_size: 16
    .language:       OpenCL C
    .language_version:
      - 2
      - 0
    .max_flat_workgroup_size: 512
    .name:           _Z6kernelI9histogramILN6hipcub23BlockHistogramAlgorithmE0EEiLj512ELj1ELj512ELj100EEvPKT0_PS4_
    .private_segment_fixed_size: 0
    .sgpr_count:     18
    .sgpr_spill_count: 0
    .symbol:         _Z6kernelI9histogramILN6hipcub23BlockHistogramAlgorithmE0EEiLj512ELj1ELj512ELj100EEvPKT0_PS4_.kd
    .uniform_work_group_size: 1
    .uses_dynamic_stack: false
    .vgpr_count:     25
    .vgpr_spill_count: 0
    .wavefront_size: 32
    .workgroup_processor_mode: 1
  - .args:
      - .address_space:  global
        .offset:         0
        .size:           8
        .value_kind:     global_buffer
      - .address_space:  global
        .offset:         8
        .size:           8
        .value_kind:     global_buffer
    .group_segment_fixed_size: 2048
    .kernarg_segment_align: 8
    .kernarg_segment_size: 16
    .language:       OpenCL C
    .language_version:
      - 2
      - 0
    .max_flat_workgroup_size: 512
    .name:           _Z6kernelI9histogramILN6hipcub23BlockHistogramAlgorithmE0EEiLj512ELj2ELj512ELj100EEvPKT0_PS4_
    .private_segment_fixed_size: 0
    .sgpr_count:     18
    .sgpr_spill_count: 0
    .symbol:         _Z6kernelI9histogramILN6hipcub23BlockHistogramAlgorithmE0EEiLj512ELj2ELj512ELj100EEvPKT0_PS4_.kd
    .uniform_work_group_size: 1
    .uses_dynamic_stack: false
    .vgpr_count:     44
    .vgpr_spill_count: 0
    .wavefront_size: 32
    .workgroup_processor_mode: 1
  - .args:
      - .address_space:  global
        .offset:         0
        .size:           8
        .value_kind:     global_buffer
      - .address_space:  global
        .offset:         8
        .size:           8
        .value_kind:     global_buffer
    .group_segment_fixed_size: 2048
    .kernarg_segment_align: 8
    .kernarg_segment_size: 16
    .language:       OpenCL C
    .language_version:
      - 2
      - 0
    .max_flat_workgroup_size: 512
    .name:           _Z6kernelI9histogramILN6hipcub23BlockHistogramAlgorithmE0EEiLj512ELj3ELj512ELj100EEvPKT0_PS4_
    .private_segment_fixed_size: 0
    .sgpr_count:     18
    .sgpr_spill_count: 0
    .symbol:         _Z6kernelI9histogramILN6hipcub23BlockHistogramAlgorithmE0EEiLj512ELj3ELj512ELj100EEvPKT0_PS4_.kd
    .uniform_work_group_size: 1
    .uses_dynamic_stack: false
    .vgpr_count:     61
    .vgpr_spill_count: 0
    .wavefront_size: 32
    .workgroup_processor_mode: 1
  - .args:
      - .address_space:  global
        .offset:         0
        .size:           8
        .value_kind:     global_buffer
      - .address_space:  global
        .offset:         8
        .size:           8
        .value_kind:     global_buffer
    .group_segment_fixed_size: 2048
    .kernarg_segment_align: 8
    .kernarg_segment_size: 16
    .language:       OpenCL C
    .language_version:
      - 2
      - 0
    .max_flat_workgroup_size: 512
    .name:           _Z6kernelI9histogramILN6hipcub23BlockHistogramAlgorithmE0EEiLj512ELj4ELj512ELj100EEvPKT0_PS4_
    .private_segment_fixed_size: 0
    .sgpr_count:     31
    .sgpr_spill_count: 0
    .symbol:         _Z6kernelI9histogramILN6hipcub23BlockHistogramAlgorithmE0EEiLj512ELj4ELj512ELj100EEvPKT0_PS4_.kd
    .uniform_work_group_size: 1
    .uses_dynamic_stack: false
    .vgpr_count:     76
    .vgpr_spill_count: 0
    .wavefront_size: 32
    .workgroup_processor_mode: 1
  - .args:
      - .address_space:  global
        .offset:         0
        .size:           8
        .value_kind:     global_buffer
      - .address_space:  global
        .offset:         8
        .size:           8
        .value_kind:     global_buffer
    .group_segment_fixed_size: 2048
    .kernarg_segment_align: 8
    .kernarg_segment_size: 16
    .language:       OpenCL C
    .language_version:
      - 2
      - 0
    .max_flat_workgroup_size: 512
    .name:           _Z6kernelI9histogramILN6hipcub23BlockHistogramAlgorithmE0EEiLj512ELj8ELj512ELj100EEvPKT0_PS4_
    .private_segment_fixed_size: 0
    .sgpr_count:     81
    .sgpr_spill_count: 0
    .symbol:         _Z6kernelI9histogramILN6hipcub23BlockHistogramAlgorithmE0EEiLj512ELj8ELj512ELj100EEvPKT0_PS4_.kd
    .uniform_work_group_size: 1
    .uses_dynamic_stack: false
    .vgpr_count:     139
    .vgpr_spill_count: 0
    .wavefront_size: 32
    .workgroup_processor_mode: 1
  - .args:
      - .address_space:  global
        .offset:         0
        .size:           8
        .value_kind:     global_buffer
      - .address_space:  global
        .offset:         8
        .size:           8
        .value_kind:     global_buffer
    .group_segment_fixed_size: 2048
    .kernarg_segment_align: 8
    .kernarg_segment_size: 16
    .language:       OpenCL C
    .language_version:
      - 2
      - 0
    .max_flat_workgroup_size: 512
    .name:           _Z6kernelI9histogramILN6hipcub23BlockHistogramAlgorithmE0EEiLj512ELj16ELj512ELj100EEvPKT0_PS4_
    .private_segment_fixed_size: 0
    .sgpr_count:     107
    .sgpr_spill_count: 47
    .symbol:         _Z6kernelI9histogramILN6hipcub23BlockHistogramAlgorithmE0EEiLj512ELj16ELj512ELj100EEvPKT0_PS4_.kd
    .uniform_work_group_size: 1
    .uses_dynamic_stack: false
    .vgpr_count:     169
    .vgpr_spill_count: 0
    .wavefront_size: 32
    .workgroup_processor_mode: 1
  - .args:
      - .address_space:  global
        .offset:         0
        .size:           8
        .value_kind:     global_buffer
      - .address_space:  global
        .offset:         8
        .size:           8
        .value_kind:     global_buffer
    .group_segment_fixed_size: 2048
    .kernarg_segment_align: 8
    .kernarg_segment_size: 16
    .language:       OpenCL C
    .language_version:
      - 2
      - 0
    .max_flat_workgroup_size: 256
    .name:           _Z6kernelI9histogramILN6hipcub23BlockHistogramAlgorithmE0EEyLj256ELj1ELj256ELj100EEvPKT0_PS4_
    .private_segment_fixed_size: 0
    .sgpr_count:     18
    .sgpr_spill_count: 0
    .symbol:         _Z6kernelI9histogramILN6hipcub23BlockHistogramAlgorithmE0EEyLj256ELj1ELj256ELj100EEvPKT0_PS4_.kd
    .uniform_work_group_size: 1
    .uses_dynamic_stack: false
    .vgpr_count:     23
    .vgpr_spill_count: 0
    .wavefront_size: 32
    .workgroup_processor_mode: 1
  - .args:
      - .address_space:  global
        .offset:         0
        .size:           8
        .value_kind:     global_buffer
      - .address_space:  global
        .offset:         8
        .size:           8
        .value_kind:     global_buffer
    .group_segment_fixed_size: 2048
    .kernarg_segment_align: 8
    .kernarg_segment_size: 16
    .language:       OpenCL C
    .language_version:
      - 2
      - 0
    .max_flat_workgroup_size: 256
    .name:           _Z6kernelI9histogramILN6hipcub23BlockHistogramAlgorithmE0EEyLj256ELj2ELj256ELj100EEvPKT0_PS4_
    .private_segment_fixed_size: 0
    .sgpr_count:     18
    .sgpr_spill_count: 0
    .symbol:         _Z6kernelI9histogramILN6hipcub23BlockHistogramAlgorithmE0EEyLj256ELj2ELj256ELj100EEvPKT0_PS4_.kd
    .uniform_work_group_size: 1
    .uses_dynamic_stack: false
    .vgpr_count:     40
    .vgpr_spill_count: 0
    .wavefront_size: 32
    .workgroup_processor_mode: 1
  - .args:
      - .address_space:  global
        .offset:         0
        .size:           8
        .value_kind:     global_buffer
      - .address_space:  global
        .offset:         8
        .size:           8
        .value_kind:     global_buffer
    .group_segment_fixed_size: 2048
    .kernarg_segment_align: 8
    .kernarg_segment_size: 16
    .language:       OpenCL C
    .language_version:
      - 2
      - 0
    .max_flat_workgroup_size: 256
    .name:           _Z6kernelI9histogramILN6hipcub23BlockHistogramAlgorithmE0EEyLj256ELj3ELj256ELj100EEvPKT0_PS4_
    .private_segment_fixed_size: 0
    .sgpr_count:     18
    .sgpr_spill_count: 0
    .symbol:         _Z6kernelI9histogramILN6hipcub23BlockHistogramAlgorithmE0EEyLj256ELj3ELj256ELj100EEvPKT0_PS4_.kd
    .uniform_work_group_size: 1
    .uses_dynamic_stack: false
    .vgpr_count:     57
    .vgpr_spill_count: 0
    .wavefront_size: 32
    .workgroup_processor_mode: 1
  - .args:
      - .address_space:  global
        .offset:         0
        .size:           8
        .value_kind:     global_buffer
      - .address_space:  global
        .offset:         8
        .size:           8
        .value_kind:     global_buffer
    .group_segment_fixed_size: 2048
    .kernarg_segment_align: 8
    .kernarg_segment_size: 16
    .language:       OpenCL C
    .language_version:
      - 2
      - 0
    .max_flat_workgroup_size: 256
    .name:           _Z6kernelI9histogramILN6hipcub23BlockHistogramAlgorithmE0EEyLj256ELj4ELj256ELj100EEvPKT0_PS4_
    .private_segment_fixed_size: 0
    .sgpr_count:     25
    .sgpr_spill_count: 0
    .symbol:         _Z6kernelI9histogramILN6hipcub23BlockHistogramAlgorithmE0EEyLj256ELj4ELj256ELj100EEvPKT0_PS4_.kd
    .uniform_work_group_size: 1
    .uses_dynamic_stack: false
    .vgpr_count:     68
    .vgpr_spill_count: 0
    .wavefront_size: 32
    .workgroup_processor_mode: 1
  - .args:
      - .address_space:  global
        .offset:         0
        .size:           8
        .value_kind:     global_buffer
      - .address_space:  global
        .offset:         8
        .size:           8
        .value_kind:     global_buffer
    .group_segment_fixed_size: 2048
    .kernarg_segment_align: 8
    .kernarg_segment_size: 16
    .language:       OpenCL C
    .language_version:
      - 2
      - 0
    .max_flat_workgroup_size: 256
    .name:           _Z6kernelI9histogramILN6hipcub23BlockHistogramAlgorithmE0EEyLj256ELj8ELj256ELj100EEvPKT0_PS4_
    .private_segment_fixed_size: 0
    .sgpr_count:     73
    .sgpr_spill_count: 0
    .symbol:         _Z6kernelI9histogramILN6hipcub23BlockHistogramAlgorithmE0EEyLj256ELj8ELj256ELj100EEvPKT0_PS4_.kd
    .uniform_work_group_size: 1
    .uses_dynamic_stack: false
    .vgpr_count:     118
    .vgpr_spill_count: 0
    .wavefront_size: 32
    .workgroup_processor_mode: 1
  - .args:
      - .address_space:  global
        .offset:         0
        .size:           8
        .value_kind:     global_buffer
      - .address_space:  global
        .offset:         8
        .size:           8
        .value_kind:     global_buffer
    .group_segment_fixed_size: 2048
    .kernarg_segment_align: 8
    .kernarg_segment_size: 16
    .language:       OpenCL C
    .language_version:
      - 2
      - 0
    .max_flat_workgroup_size: 256
    .name:           _Z6kernelI9histogramILN6hipcub23BlockHistogramAlgorithmE0EEyLj256ELj16ELj256ELj100EEvPKT0_PS4_
    .private_segment_fixed_size: 0
    .sgpr_count:     107
    .sgpr_spill_count: 31
    .symbol:         _Z6kernelI9histogramILN6hipcub23BlockHistogramAlgorithmE0EEyLj256ELj16ELj256ELj100EEvPKT0_PS4_.kd
    .uniform_work_group_size: 1
    .uses_dynamic_stack: false
    .vgpr_count:     165
    .vgpr_spill_count: 0
    .wavefront_size: 32
    .workgroup_processor_mode: 1
  - .args:
      - .address_space:  global
        .offset:         0
        .size:           8
        .value_kind:     global_buffer
      - .address_space:  global
        .offset:         8
        .size:           8
        .value_kind:     global_buffer
    .group_segment_fixed_size: 2560
    .kernarg_segment_align: 8
    .kernarg_segment_size: 16
    .language:       OpenCL C
    .language_version:
      - 2
      - 0
    .max_flat_workgroup_size: 320
    .name:           _Z6kernelI9histogramILN6hipcub23BlockHistogramAlgorithmE0EEyLj320ELj1ELj320ELj100EEvPKT0_PS4_
    .private_segment_fixed_size: 0
    .sgpr_count:     18
    .sgpr_spill_count: 0
    .symbol:         _Z6kernelI9histogramILN6hipcub23BlockHistogramAlgorithmE0EEyLj320ELj1ELj320ELj100EEvPKT0_PS4_.kd
    .uniform_work_group_size: 1
    .uses_dynamic_stack: false
    .vgpr_count:     26
    .vgpr_spill_count: 0
    .wavefront_size: 32
    .workgroup_processor_mode: 1
  - .args:
      - .address_space:  global
        .offset:         0
        .size:           8
        .value_kind:     global_buffer
      - .address_space:  global
        .offset:         8
        .size:           8
        .value_kind:     global_buffer
    .group_segment_fixed_size: 2560
    .kernarg_segment_align: 8
    .kernarg_segment_size: 16
    .language:       OpenCL C
    .language_version:
      - 2
      - 0
    .max_flat_workgroup_size: 320
    .name:           _Z6kernelI9histogramILN6hipcub23BlockHistogramAlgorithmE0EEyLj320ELj2ELj320ELj100EEvPKT0_PS4_
    .private_segment_fixed_size: 0
    .sgpr_count:     18
    .sgpr_spill_count: 0
    .symbol:         _Z6kernelI9histogramILN6hipcub23BlockHistogramAlgorithmE0EEyLj320ELj2ELj320ELj100EEvPKT0_PS4_.kd
    .uniform_work_group_size: 1
    .uses_dynamic_stack: false
    .vgpr_count:     44
    .vgpr_spill_count: 0
    .wavefront_size: 32
    .workgroup_processor_mode: 1
  - .args:
      - .address_space:  global
        .offset:         0
        .size:           8
        .value_kind:     global_buffer
      - .address_space:  global
        .offset:         8
        .size:           8
        .value_kind:     global_buffer
    .group_segment_fixed_size: 2560
    .kernarg_segment_align: 8
    .kernarg_segment_size: 16
    .language:       OpenCL C
    .language_version:
      - 2
      - 0
    .max_flat_workgroup_size: 320
    .name:           _Z6kernelI9histogramILN6hipcub23BlockHistogramAlgorithmE0EEyLj320ELj3ELj320ELj100EEvPKT0_PS4_
    .private_segment_fixed_size: 0
    .sgpr_count:     18
    .sgpr_spill_count: 0
    .symbol:         _Z6kernelI9histogramILN6hipcub23BlockHistogramAlgorithmE0EEyLj320ELj3ELj320ELj100EEvPKT0_PS4_.kd
    .uniform_work_group_size: 1
    .uses_dynamic_stack: false
    .vgpr_count:     59
    .vgpr_spill_count: 0
    .wavefront_size: 32
    .workgroup_processor_mode: 1
  - .args:
      - .address_space:  global
        .offset:         0
        .size:           8
        .value_kind:     global_buffer
      - .address_space:  global
        .offset:         8
        .size:           8
        .value_kind:     global_buffer
    .group_segment_fixed_size: 2560
    .kernarg_segment_align: 8
    .kernarg_segment_size: 16
    .language:       OpenCL C
    .language_version:
      - 2
      - 0
    .max_flat_workgroup_size: 320
    .name:           _Z6kernelI9histogramILN6hipcub23BlockHistogramAlgorithmE0EEyLj320ELj4ELj320ELj100EEvPKT0_PS4_
    .private_segment_fixed_size: 0
    .sgpr_count:     42
    .sgpr_spill_count: 0
    .symbol:         _Z6kernelI9histogramILN6hipcub23BlockHistogramAlgorithmE0EEyLj320ELj4ELj320ELj100EEvPKT0_PS4_.kd
    .uniform_work_group_size: 1
    .uses_dynamic_stack: false
    .vgpr_count:     76
    .vgpr_spill_count: 0
    .wavefront_size: 32
    .workgroup_processor_mode: 1
  - .args:
      - .address_space:  global
        .offset:         0
        .size:           8
        .value_kind:     global_buffer
      - .address_space:  global
        .offset:         8
        .size:           8
        .value_kind:     global_buffer
    .group_segment_fixed_size: 2560
    .kernarg_segment_align: 8
    .kernarg_segment_size: 16
    .language:       OpenCL C
    .language_version:
      - 2
      - 0
    .max_flat_workgroup_size: 320
    .name:           _Z6kernelI9histogramILN6hipcub23BlockHistogramAlgorithmE0EEyLj320ELj8ELj320ELj100EEvPKT0_PS4_
    .private_segment_fixed_size: 0
    .sgpr_count:     80
    .sgpr_spill_count: 0
    .symbol:         _Z6kernelI9histogramILN6hipcub23BlockHistogramAlgorithmE0EEyLj320ELj8ELj320ELj100EEvPKT0_PS4_.kd
    .uniform_work_group_size: 1
    .uses_dynamic_stack: false
    .vgpr_count:     139
    .vgpr_spill_count: 0
    .wavefront_size: 32
    .workgroup_processor_mode: 1
  - .args:
      - .address_space:  global
        .offset:         0
        .size:           8
        .value_kind:     global_buffer
      - .address_space:  global
        .offset:         8
        .size:           8
        .value_kind:     global_buffer
    .group_segment_fixed_size: 2560
    .kernarg_segment_align: 8
    .kernarg_segment_size: 16
    .language:       OpenCL C
    .language_version:
      - 2
      - 0
    .max_flat_workgroup_size: 320
    .name:           _Z6kernelI9histogramILN6hipcub23BlockHistogramAlgorithmE0EEyLj320ELj16ELj320ELj100EEvPKT0_PS4_
    .private_segment_fixed_size: 0
    .sgpr_count:     107
    .sgpr_spill_count: 46
    .symbol:         _Z6kernelI9histogramILN6hipcub23BlockHistogramAlgorithmE0EEyLj320ELj16ELj320ELj100EEvPKT0_PS4_.kd
    .uniform_work_group_size: 1
    .uses_dynamic_stack: false
    .vgpr_count:     169
    .vgpr_spill_count: 0
    .wavefront_size: 32
    .workgroup_processor_mode: 1
  - .args:
      - .address_space:  global
        .offset:         0
        .size:           8
        .value_kind:     global_buffer
      - .address_space:  global
        .offset:         8
        .size:           8
        .value_kind:     global_buffer
      - .offset:         16
        .size:           4
        .value_kind:     hidden_block_count_x
      - .offset:         20
        .size:           4
        .value_kind:     hidden_block_count_y
      - .offset:         24
        .size:           4
        .value_kind:     hidden_block_count_z
      - .offset:         28
        .size:           2
        .value_kind:     hidden_group_size_x
      - .offset:         30
        .size:           2
        .value_kind:     hidden_group_size_y
      - .offset:         32
        .size:           2
        .value_kind:     hidden_group_size_z
      - .offset:         34
        .size:           2
        .value_kind:     hidden_remainder_x
      - .offset:         36
        .size:           2
        .value_kind:     hidden_remainder_y
      - .offset:         38
        .size:           2
        .value_kind:     hidden_remainder_z
      - .offset:         56
        .size:           8
        .value_kind:     hidden_global_offset_x
      - .offset:         64
        .size:           8
        .value_kind:     hidden_global_offset_y
      - .offset:         72
        .size:           8
        .value_kind:     hidden_global_offset_z
      - .offset:         80
        .size:           2
        .value_kind:     hidden_grid_dims
    .group_segment_fixed_size: 9248
    .kernarg_segment_align: 8
    .kernarg_segment_size: 272
    .language:       OpenCL C
    .language_version:
      - 2
      - 0
    .max_flat_workgroup_size: 256
    .name:           _Z6kernelI9histogramILN6hipcub23BlockHistogramAlgorithmE1EEiLj256ELj1ELj256ELj100EEvPKT0_PS4_
    .private_segment_fixed_size: 0
    .sgpr_count:     26
    .sgpr_spill_count: 0
    .symbol:         _Z6kernelI9histogramILN6hipcub23BlockHistogramAlgorithmE1EEiLj256ELj1ELj256ELj100EEvPKT0_PS4_.kd
    .uniform_work_group_size: 1
    .uses_dynamic_stack: false
    .vgpr_count:     31
    .vgpr_spill_count: 0
    .wavefront_size: 32
    .workgroup_processor_mode: 1
  - .args:
      - .address_space:  global
        .offset:         0
        .size:           8
        .value_kind:     global_buffer
      - .address_space:  global
        .offset:         8
        .size:           8
        .value_kind:     global_buffer
      - .offset:         16
        .size:           4
        .value_kind:     hidden_block_count_x
      - .offset:         20
        .size:           4
        .value_kind:     hidden_block_count_y
      - .offset:         24
        .size:           4
        .value_kind:     hidden_block_count_z
      - .offset:         28
        .size:           2
        .value_kind:     hidden_group_size_x
      - .offset:         30
        .size:           2
        .value_kind:     hidden_group_size_y
      - .offset:         32
        .size:           2
        .value_kind:     hidden_group_size_z
      - .offset:         34
        .size:           2
        .value_kind:     hidden_remainder_x
      - .offset:         36
        .size:           2
        .value_kind:     hidden_remainder_y
      - .offset:         38
        .size:           2
        .value_kind:     hidden_remainder_z
      - .offset:         56
        .size:           8
        .value_kind:     hidden_global_offset_x
      - .offset:         64
        .size:           8
        .value_kind:     hidden_global_offset_y
      - .offset:         72
        .size:           8
        .value_kind:     hidden_global_offset_z
      - .offset:         80
        .size:           2
        .value_kind:     hidden_grid_dims
    .group_segment_fixed_size: 9248
    .kernarg_segment_align: 8
    .kernarg_segment_size: 272
    .language:       OpenCL C
    .language_version:
      - 2
      - 0
    .max_flat_workgroup_size: 256
    .name:           _Z6kernelI9histogramILN6hipcub23BlockHistogramAlgorithmE1EEiLj256ELj2ELj256ELj100EEvPKT0_PS4_
    .private_segment_fixed_size: 0
    .sgpr_count:     26
    .sgpr_spill_count: 0
    .symbol:         _Z6kernelI9histogramILN6hipcub23BlockHistogramAlgorithmE1EEiLj256ELj2ELj256ELj100EEvPKT0_PS4_.kd
    .uniform_work_group_size: 1
    .uses_dynamic_stack: false
    .vgpr_count:     39
    .vgpr_spill_count: 0
    .wavefront_size: 32
    .workgroup_processor_mode: 1
  - .args:
      - .address_space:  global
        .offset:         0
        .size:           8
        .value_kind:     global_buffer
      - .address_space:  global
        .offset:         8
        .size:           8
        .value_kind:     global_buffer
      - .offset:         16
        .size:           4
        .value_kind:     hidden_block_count_x
      - .offset:         20
        .size:           4
        .value_kind:     hidden_block_count_y
      - .offset:         24
        .size:           4
        .value_kind:     hidden_block_count_z
      - .offset:         28
        .size:           2
        .value_kind:     hidden_group_size_x
      - .offset:         30
        .size:           2
        .value_kind:     hidden_group_size_y
      - .offset:         32
        .size:           2
        .value_kind:     hidden_group_size_z
      - .offset:         34
        .size:           2
        .value_kind:     hidden_remainder_x
      - .offset:         36
        .size:           2
        .value_kind:     hidden_remainder_y
      - .offset:         38
        .size:           2
        .value_kind:     hidden_remainder_z
      - .offset:         56
        .size:           8
        .value_kind:     hidden_global_offset_x
      - .offset:         64
        .size:           8
        .value_kind:     hidden_global_offset_y
      - .offset:         72
        .size:           8
        .value_kind:     hidden_global_offset_z
      - .offset:         80
        .size:           2
        .value_kind:     hidden_grid_dims
    .group_segment_fixed_size: 9248
    .kernarg_segment_align: 8
    .kernarg_segment_size: 272
    .language:       OpenCL C
    .language_version:
      - 2
      - 0
    .max_flat_workgroup_size: 256
    .name:           _Z6kernelI9histogramILN6hipcub23BlockHistogramAlgorithmE1EEiLj256ELj3ELj256ELj100EEvPKT0_PS4_
    .private_segment_fixed_size: 0
    .sgpr_count:     24
    .sgpr_spill_count: 0
    .symbol:         _Z6kernelI9histogramILN6hipcub23BlockHistogramAlgorithmE1EEiLj256ELj3ELj256ELj100EEvPKT0_PS4_.kd
    .uniform_work_group_size: 1
    .uses_dynamic_stack: false
    .vgpr_count:     44
    .vgpr_spill_count: 0
    .wavefront_size: 32
    .workgroup_processor_mode: 1
  - .args:
      - .address_space:  global
        .offset:         0
        .size:           8
        .value_kind:     global_buffer
      - .address_space:  global
        .offset:         8
        .size:           8
        .value_kind:     global_buffer
      - .offset:         16
        .size:           4
        .value_kind:     hidden_block_count_x
      - .offset:         20
        .size:           4
        .value_kind:     hidden_block_count_y
      - .offset:         24
        .size:           4
        .value_kind:     hidden_block_count_z
      - .offset:         28
        .size:           2
        .value_kind:     hidden_group_size_x
      - .offset:         30
        .size:           2
        .value_kind:     hidden_group_size_y
      - .offset:         32
        .size:           2
        .value_kind:     hidden_group_size_z
      - .offset:         34
        .size:           2
        .value_kind:     hidden_remainder_x
      - .offset:         36
        .size:           2
        .value_kind:     hidden_remainder_y
      - .offset:         38
        .size:           2
        .value_kind:     hidden_remainder_z
      - .offset:         56
        .size:           8
        .value_kind:     hidden_global_offset_x
      - .offset:         64
        .size:           8
        .value_kind:     hidden_global_offset_y
      - .offset:         72
        .size:           8
        .value_kind:     hidden_global_offset_z
      - .offset:         80
        .size:           2
        .value_kind:     hidden_grid_dims
    .group_segment_fixed_size: 9248
    .kernarg_segment_align: 8
    .kernarg_segment_size: 272
    .language:       OpenCL C
    .language_version:
      - 2
      - 0
    .max_flat_workgroup_size: 256
    .name:           _Z6kernelI9histogramILN6hipcub23BlockHistogramAlgorithmE1EEiLj256ELj4ELj256ELj100EEvPKT0_PS4_
    .private_segment_fixed_size: 0
    .sgpr_count:     28
    .sgpr_spill_count: 0
    .symbol:         _Z6kernelI9histogramILN6hipcub23BlockHistogramAlgorithmE1EEiLj256ELj4ELj256ELj100EEvPKT0_PS4_.kd
    .uniform_work_group_size: 1
    .uses_dynamic_stack: false
    .vgpr_count:     52
    .vgpr_spill_count: 0
    .wavefront_size: 32
    .workgroup_processor_mode: 1
  - .args:
      - .address_space:  global
        .offset:         0
        .size:           8
        .value_kind:     global_buffer
      - .address_space:  global
        .offset:         8
        .size:           8
        .value_kind:     global_buffer
      - .offset:         16
        .size:           4
        .value_kind:     hidden_block_count_x
      - .offset:         20
        .size:           4
        .value_kind:     hidden_block_count_y
      - .offset:         24
        .size:           4
        .value_kind:     hidden_block_count_z
      - .offset:         28
        .size:           2
        .value_kind:     hidden_group_size_x
      - .offset:         30
        .size:           2
        .value_kind:     hidden_group_size_y
      - .offset:         32
        .size:           2
        .value_kind:     hidden_group_size_z
      - .offset:         34
        .size:           2
        .value_kind:     hidden_remainder_x
      - .offset:         36
        .size:           2
        .value_kind:     hidden_remainder_y
      - .offset:         38
        .size:           2
        .value_kind:     hidden_remainder_z
      - .offset:         56
        .size:           8
        .value_kind:     hidden_global_offset_x
      - .offset:         64
        .size:           8
        .value_kind:     hidden_global_offset_y
      - .offset:         72
        .size:           8
        .value_kind:     hidden_global_offset_z
      - .offset:         80
        .size:           2
        .value_kind:     hidden_grid_dims
    .group_segment_fixed_size: 9248
    .kernarg_segment_align: 8
    .kernarg_segment_size: 272
    .language:       OpenCL C
    .language_version:
      - 2
      - 0
    .max_flat_workgroup_size: 256
    .name:           _Z6kernelI9histogramILN6hipcub23BlockHistogramAlgorithmE1EEiLj256ELj8ELj256ELj100EEvPKT0_PS4_
    .private_segment_fixed_size: 0
    .sgpr_count:     24
    .sgpr_spill_count: 0
    .symbol:         _Z6kernelI9histogramILN6hipcub23BlockHistogramAlgorithmE1EEiLj256ELj8ELj256ELj100EEvPKT0_PS4_.kd
    .uniform_work_group_size: 1
    .uses_dynamic_stack: false
    .vgpr_count:     69
    .vgpr_spill_count: 0
    .wavefront_size: 32
    .workgroup_processor_mode: 1
  - .args:
      - .address_space:  global
        .offset:         0
        .size:           8
        .value_kind:     global_buffer
      - .address_space:  global
        .offset:         8
        .size:           8
        .value_kind:     global_buffer
      - .offset:         16
        .size:           4
        .value_kind:     hidden_block_count_x
      - .offset:         20
        .size:           4
        .value_kind:     hidden_block_count_y
      - .offset:         24
        .size:           4
        .value_kind:     hidden_block_count_z
      - .offset:         28
        .size:           2
        .value_kind:     hidden_group_size_x
      - .offset:         30
        .size:           2
        .value_kind:     hidden_group_size_y
      - .offset:         32
        .size:           2
        .value_kind:     hidden_group_size_z
      - .offset:         34
        .size:           2
        .value_kind:     hidden_remainder_x
      - .offset:         36
        .size:           2
        .value_kind:     hidden_remainder_y
      - .offset:         38
        .size:           2
        .value_kind:     hidden_remainder_z
      - .offset:         56
        .size:           8
        .value_kind:     hidden_global_offset_x
      - .offset:         64
        .size:           8
        .value_kind:     hidden_global_offset_y
      - .offset:         72
        .size:           8
        .value_kind:     hidden_global_offset_z
      - .offset:         80
        .size:           2
        .value_kind:     hidden_grid_dims
    .group_segment_fixed_size: 17408
    .kernarg_segment_align: 8
    .kernarg_segment_size: 272
    .language:       OpenCL C
    .language_version:
      - 2
      - 0
    .max_flat_workgroup_size: 256
    .name:           _Z6kernelI9histogramILN6hipcub23BlockHistogramAlgorithmE1EEiLj256ELj16ELj256ELj100EEvPKT0_PS4_
    .private_segment_fixed_size: 0
    .sgpr_count:     28
    .sgpr_spill_count: 0
    .symbol:         _Z6kernelI9histogramILN6hipcub23BlockHistogramAlgorithmE1EEiLj256ELj16ELj256ELj100EEvPKT0_PS4_.kd
    .uniform_work_group_size: 1
    .uses_dynamic_stack: false
    .vgpr_count:     106
    .vgpr_spill_count: 0
    .wavefront_size: 32
    .workgroup_processor_mode: 1
  - .args:
      - .address_space:  global
        .offset:         0
        .size:           8
        .value_kind:     global_buffer
      - .address_space:  global
        .offset:         8
        .size:           8
        .value_kind:     global_buffer
      - .offset:         16
        .size:           4
        .value_kind:     hidden_block_count_x
      - .offset:         20
        .size:           4
        .value_kind:     hidden_block_count_y
      - .offset:         24
        .size:           4
        .value_kind:     hidden_block_count_z
      - .offset:         28
        .size:           2
        .value_kind:     hidden_group_size_x
      - .offset:         30
        .size:           2
        .value_kind:     hidden_group_size_y
      - .offset:         32
        .size:           2
        .value_kind:     hidden_group_size_z
      - .offset:         34
        .size:           2
        .value_kind:     hidden_remainder_x
      - .offset:         36
        .size:           2
        .value_kind:     hidden_remainder_y
      - .offset:         38
        .size:           2
        .value_kind:     hidden_remainder_z
      - .offset:         56
        .size:           8
        .value_kind:     hidden_global_offset_x
      - .offset:         64
        .size:           8
        .value_kind:     hidden_global_offset_y
      - .offset:         72
        .size:           8
        .value_kind:     hidden_global_offset_z
      - .offset:         80
        .size:           2
        .value_kind:     hidden_grid_dims
    .group_segment_fixed_size: 11568
    .kernarg_segment_align: 8
    .kernarg_segment_size: 272
    .language:       OpenCL C
    .language_version:
      - 2
      - 0
    .max_flat_workgroup_size: 320
    .name:           _Z6kernelI9histogramILN6hipcub23BlockHistogramAlgorithmE1EEiLj320ELj1ELj320ELj100EEvPKT0_PS4_
    .private_segment_fixed_size: 0
    .sgpr_count:     23
    .sgpr_spill_count: 0
    .symbol:         _Z6kernelI9histogramILN6hipcub23BlockHistogramAlgorithmE1EEiLj320ELj1ELj320ELj100EEvPKT0_PS4_.kd
    .uniform_work_group_size: 1
    .uses_dynamic_stack: false
    .vgpr_count:     32
    .vgpr_spill_count: 0
    .wavefront_size: 32
    .workgroup_processor_mode: 1
  - .args:
      - .address_space:  global
        .offset:         0
        .size:           8
        .value_kind:     global_buffer
      - .address_space:  global
        .offset:         8
        .size:           8
        .value_kind:     global_buffer
      - .offset:         16
        .size:           4
        .value_kind:     hidden_block_count_x
      - .offset:         20
        .size:           4
        .value_kind:     hidden_block_count_y
      - .offset:         24
        .size:           4
        .value_kind:     hidden_block_count_z
      - .offset:         28
        .size:           2
        .value_kind:     hidden_group_size_x
      - .offset:         30
        .size:           2
        .value_kind:     hidden_group_size_y
      - .offset:         32
        .size:           2
        .value_kind:     hidden_group_size_z
      - .offset:         34
        .size:           2
        .value_kind:     hidden_remainder_x
      - .offset:         36
        .size:           2
        .value_kind:     hidden_remainder_y
      - .offset:         38
        .size:           2
        .value_kind:     hidden_remainder_z
      - .offset:         56
        .size:           8
        .value_kind:     hidden_global_offset_x
      - .offset:         64
        .size:           8
        .value_kind:     hidden_global_offset_y
      - .offset:         72
        .size:           8
        .value_kind:     hidden_global_offset_z
      - .offset:         80
        .size:           2
        .value_kind:     hidden_grid_dims
    .group_segment_fixed_size: 11568
    .kernarg_segment_align: 8
    .kernarg_segment_size: 272
    .language:       OpenCL C
    .language_version:
      - 2
      - 0
    .max_flat_workgroup_size: 320
    .name:           _Z6kernelI9histogramILN6hipcub23BlockHistogramAlgorithmE1EEiLj320ELj2ELj320ELj100EEvPKT0_PS4_
    .private_segment_fixed_size: 0
    .sgpr_count:     22
    .sgpr_spill_count: 0
    .symbol:         _Z6kernelI9histogramILN6hipcub23BlockHistogramAlgorithmE1EEiLj320ELj2ELj320ELj100EEvPKT0_PS4_.kd
    .uniform_work_group_size: 1
    .uses_dynamic_stack: false
    .vgpr_count:     39
    .vgpr_spill_count: 0
    .wavefront_size: 32
    .workgroup_processor_mode: 1
  - .args:
      - .address_space:  global
        .offset:         0
        .size:           8
        .value_kind:     global_buffer
      - .address_space:  global
        .offset:         8
        .size:           8
        .value_kind:     global_buffer
      - .offset:         16
        .size:           4
        .value_kind:     hidden_block_count_x
      - .offset:         20
        .size:           4
        .value_kind:     hidden_block_count_y
      - .offset:         24
        .size:           4
        .value_kind:     hidden_block_count_z
      - .offset:         28
        .size:           2
        .value_kind:     hidden_group_size_x
      - .offset:         30
        .size:           2
        .value_kind:     hidden_group_size_y
      - .offset:         32
        .size:           2
        .value_kind:     hidden_group_size_z
      - .offset:         34
        .size:           2
        .value_kind:     hidden_remainder_x
      - .offset:         36
        .size:           2
        .value_kind:     hidden_remainder_y
      - .offset:         38
        .size:           2
        .value_kind:     hidden_remainder_z
      - .offset:         56
        .size:           8
        .value_kind:     hidden_global_offset_x
      - .offset:         64
        .size:           8
        .value_kind:     hidden_global_offset_y
      - .offset:         72
        .size:           8
        .value_kind:     hidden_global_offset_z
      - .offset:         80
        .size:           2
        .value_kind:     hidden_grid_dims
    .group_segment_fixed_size: 11568
    .kernarg_segment_align: 8
    .kernarg_segment_size: 272
    .language:       OpenCL C
    .language_version:
      - 2
      - 0
    .max_flat_workgroup_size: 320
    .name:           _Z6kernelI9histogramILN6hipcub23BlockHistogramAlgorithmE1EEiLj320ELj3ELj320ELj100EEvPKT0_PS4_
    .private_segment_fixed_size: 0
    .sgpr_count:     20
    .sgpr_spill_count: 0
    .symbol:         _Z6kernelI9histogramILN6hipcub23BlockHistogramAlgorithmE1EEiLj320ELj3ELj320ELj100EEvPKT0_PS4_.kd
    .uniform_work_group_size: 1
    .uses_dynamic_stack: false
    .vgpr_count:     44
    .vgpr_spill_count: 0
    .wavefront_size: 32
    .workgroup_processor_mode: 1
  - .args:
      - .address_space:  global
        .offset:         0
        .size:           8
        .value_kind:     global_buffer
      - .address_space:  global
        .offset:         8
        .size:           8
        .value_kind:     global_buffer
      - .offset:         16
        .size:           4
        .value_kind:     hidden_block_count_x
      - .offset:         20
        .size:           4
        .value_kind:     hidden_block_count_y
      - .offset:         24
        .size:           4
        .value_kind:     hidden_block_count_z
      - .offset:         28
        .size:           2
        .value_kind:     hidden_group_size_x
      - .offset:         30
        .size:           2
        .value_kind:     hidden_group_size_y
      - .offset:         32
        .size:           2
        .value_kind:     hidden_group_size_z
      - .offset:         34
        .size:           2
        .value_kind:     hidden_remainder_x
      - .offset:         36
        .size:           2
        .value_kind:     hidden_remainder_y
      - .offset:         38
        .size:           2
        .value_kind:     hidden_remainder_z
      - .offset:         56
        .size:           8
        .value_kind:     hidden_global_offset_x
      - .offset:         64
        .size:           8
        .value_kind:     hidden_global_offset_y
      - .offset:         72
        .size:           8
        .value_kind:     hidden_global_offset_z
      - .offset:         80
        .size:           2
        .value_kind:     hidden_grid_dims
    .group_segment_fixed_size: 11568
    .kernarg_segment_align: 8
    .kernarg_segment_size: 272
    .language:       OpenCL C
    .language_version:
      - 2
      - 0
    .max_flat_workgroup_size: 320
    .name:           _Z6kernelI9histogramILN6hipcub23BlockHistogramAlgorithmE1EEiLj320ELj4ELj320ELj100EEvPKT0_PS4_
    .private_segment_fixed_size: 0
    .sgpr_count:     24
    .sgpr_spill_count: 0
    .symbol:         _Z6kernelI9histogramILN6hipcub23BlockHistogramAlgorithmE1EEiLj320ELj4ELj320ELj100EEvPKT0_PS4_.kd
    .uniform_work_group_size: 1
    .uses_dynamic_stack: false
    .vgpr_count:     52
    .vgpr_spill_count: 0
    .wavefront_size: 32
    .workgroup_processor_mode: 1
  - .args:
      - .address_space:  global
        .offset:         0
        .size:           8
        .value_kind:     global_buffer
      - .address_space:  global
        .offset:         8
        .size:           8
        .value_kind:     global_buffer
      - .offset:         16
        .size:           4
        .value_kind:     hidden_block_count_x
      - .offset:         20
        .size:           4
        .value_kind:     hidden_block_count_y
      - .offset:         24
        .size:           4
        .value_kind:     hidden_block_count_z
      - .offset:         28
        .size:           2
        .value_kind:     hidden_group_size_x
      - .offset:         30
        .size:           2
        .value_kind:     hidden_group_size_y
      - .offset:         32
        .size:           2
        .value_kind:     hidden_group_size_z
      - .offset:         34
        .size:           2
        .value_kind:     hidden_remainder_x
      - .offset:         36
        .size:           2
        .value_kind:     hidden_remainder_y
      - .offset:         38
        .size:           2
        .value_kind:     hidden_remainder_z
      - .offset:         56
        .size:           8
        .value_kind:     hidden_global_offset_x
      - .offset:         64
        .size:           8
        .value_kind:     hidden_global_offset_y
      - .offset:         72
        .size:           8
        .value_kind:     hidden_global_offset_z
      - .offset:         80
        .size:           2
        .value_kind:     hidden_grid_dims
    .group_segment_fixed_size: 11840
    .kernarg_segment_align: 8
    .kernarg_segment_size: 272
    .language:       OpenCL C
    .language_version:
      - 2
      - 0
    .max_flat_workgroup_size: 320
    .name:           _Z6kernelI9histogramILN6hipcub23BlockHistogramAlgorithmE1EEiLj320ELj8ELj320ELj100EEvPKT0_PS4_
    .private_segment_fixed_size: 0
    .sgpr_count:     22
    .sgpr_spill_count: 0
    .symbol:         _Z6kernelI9histogramILN6hipcub23BlockHistogramAlgorithmE1EEiLj320ELj8ELj320ELj100EEvPKT0_PS4_.kd
    .uniform_work_group_size: 1
    .uses_dynamic_stack: false
    .vgpr_count:     75
    .vgpr_spill_count: 0
    .wavefront_size: 32
    .workgroup_processor_mode: 1
  - .args:
      - .address_space:  global
        .offset:         0
        .size:           8
        .value_kind:     global_buffer
      - .address_space:  global
        .offset:         8
        .size:           8
        .value_kind:     global_buffer
      - .offset:         16
        .size:           4
        .value_kind:     hidden_block_count_x
      - .offset:         20
        .size:           4
        .value_kind:     hidden_block_count_y
      - .offset:         24
        .size:           4
        .value_kind:     hidden_block_count_z
      - .offset:         28
        .size:           2
        .value_kind:     hidden_group_size_x
      - .offset:         30
        .size:           2
        .value_kind:     hidden_group_size_y
      - .offset:         32
        .size:           2
        .value_kind:     hidden_group_size_z
      - .offset:         34
        .size:           2
        .value_kind:     hidden_remainder_x
      - .offset:         36
        .size:           2
        .value_kind:     hidden_remainder_y
      - .offset:         38
        .size:           2
        .value_kind:     hidden_remainder_z
      - .offset:         56
        .size:           8
        .value_kind:     hidden_global_offset_x
      - .offset:         64
        .size:           8
        .value_kind:     hidden_global_offset_y
      - .offset:         72
        .size:           8
        .value_kind:     hidden_global_offset_z
      - .offset:         80
        .size:           2
        .value_kind:     hidden_grid_dims
    .group_segment_fixed_size: 22400
    .kernarg_segment_align: 8
    .kernarg_segment_size: 272
    .language:       OpenCL C
    .language_version:
      - 2
      - 0
    .max_flat_workgroup_size: 320
    .name:           _Z6kernelI9histogramILN6hipcub23BlockHistogramAlgorithmE1EEiLj320ELj16ELj320ELj100EEvPKT0_PS4_
    .private_segment_fixed_size: 0
    .sgpr_count:     24
    .sgpr_spill_count: 0
    .symbol:         _Z6kernelI9histogramILN6hipcub23BlockHistogramAlgorithmE1EEiLj320ELj16ELj320ELj100EEvPKT0_PS4_.kd
    .uniform_work_group_size: 1
    .uses_dynamic_stack: false
    .vgpr_count:     121
    .vgpr_spill_count: 0
    .wavefront_size: 32
    .workgroup_processor_mode: 1
  - .args:
      - .address_space:  global
        .offset:         0
        .size:           8
        .value_kind:     global_buffer
      - .address_space:  global
        .offset:         8
        .size:           8
        .value_kind:     global_buffer
      - .offset:         16
        .size:           4
        .value_kind:     hidden_block_count_x
      - .offset:         20
        .size:           4
        .value_kind:     hidden_block_count_y
      - .offset:         24
        .size:           4
        .value_kind:     hidden_block_count_z
      - .offset:         28
        .size:           2
        .value_kind:     hidden_group_size_x
      - .offset:         30
        .size:           2
        .value_kind:     hidden_group_size_y
      - .offset:         32
        .size:           2
        .value_kind:     hidden_group_size_z
      - .offset:         34
        .size:           2
        .value_kind:     hidden_remainder_x
      - .offset:         36
        .size:           2
        .value_kind:     hidden_remainder_y
      - .offset:         38
        .size:           2
        .value_kind:     hidden_remainder_z
      - .offset:         56
        .size:           8
        .value_kind:     hidden_global_offset_x
      - .offset:         64
        .size:           8
        .value_kind:     hidden_global_offset_y
      - .offset:         72
        .size:           8
        .value_kind:     hidden_global_offset_z
      - .offset:         80
        .size:           2
        .value_kind:     hidden_grid_dims
    .group_segment_fixed_size: 18496
    .kernarg_segment_align: 8
    .kernarg_segment_size: 272
    .language:       OpenCL C
    .language_version:
      - 2
      - 0
    .max_flat_workgroup_size: 512
    .name:           _Z6kernelI9histogramILN6hipcub23BlockHistogramAlgorithmE1EEiLj512ELj1ELj512ELj100EEvPKT0_PS4_
    .private_segment_fixed_size: 0
    .sgpr_count:     23
    .sgpr_spill_count: 0
    .symbol:         _Z6kernelI9histogramILN6hipcub23BlockHistogramAlgorithmE1EEiLj512ELj1ELj512ELj100EEvPKT0_PS4_.kd
    .uniform_work_group_size: 1
    .uses_dynamic_stack: false
    .vgpr_count:     31
    .vgpr_spill_count: 0
    .wavefront_size: 32
    .workgroup_processor_mode: 1
  - .args:
      - .address_space:  global
        .offset:         0
        .size:           8
        .value_kind:     global_buffer
      - .address_space:  global
        .offset:         8
        .size:           8
        .value_kind:     global_buffer
      - .offset:         16
        .size:           4
        .value_kind:     hidden_block_count_x
      - .offset:         20
        .size:           4
        .value_kind:     hidden_block_count_y
      - .offset:         24
        .size:           4
        .value_kind:     hidden_block_count_z
      - .offset:         28
        .size:           2
        .value_kind:     hidden_group_size_x
      - .offset:         30
        .size:           2
        .value_kind:     hidden_group_size_y
      - .offset:         32
        .size:           2
        .value_kind:     hidden_group_size_z
      - .offset:         34
        .size:           2
        .value_kind:     hidden_remainder_x
      - .offset:         36
        .size:           2
        .value_kind:     hidden_remainder_y
      - .offset:         38
        .size:           2
        .value_kind:     hidden_remainder_z
      - .offset:         56
        .size:           8
        .value_kind:     hidden_global_offset_x
      - .offset:         64
        .size:           8
        .value_kind:     hidden_global_offset_y
      - .offset:         72
        .size:           8
        .value_kind:     hidden_global_offset_z
      - .offset:         80
        .size:           2
        .value_kind:     hidden_grid_dims
    .group_segment_fixed_size: 18496
    .kernarg_segment_align: 8
    .kernarg_segment_size: 272
    .language:       OpenCL C
    .language_version:
      - 2
      - 0
    .max_flat_workgroup_size: 512
    .name:           _Z6kernelI9histogramILN6hipcub23BlockHistogramAlgorithmE1EEiLj512ELj2ELj512ELj100EEvPKT0_PS4_
    .private_segment_fixed_size: 0
    .sgpr_count:     24
    .sgpr_spill_count: 0
    .symbol:         _Z6kernelI9histogramILN6hipcub23BlockHistogramAlgorithmE1EEiLj512ELj2ELj512ELj100EEvPKT0_PS4_.kd
    .uniform_work_group_size: 1
    .uses_dynamic_stack: false
    .vgpr_count:     39
    .vgpr_spill_count: 0
    .wavefront_size: 32
    .workgroup_processor_mode: 1
  - .args:
      - .address_space:  global
        .offset:         0
        .size:           8
        .value_kind:     global_buffer
      - .address_space:  global
        .offset:         8
        .size:           8
        .value_kind:     global_buffer
      - .offset:         16
        .size:           4
        .value_kind:     hidden_block_count_x
      - .offset:         20
        .size:           4
        .value_kind:     hidden_block_count_y
      - .offset:         24
        .size:           4
        .value_kind:     hidden_block_count_z
      - .offset:         28
        .size:           2
        .value_kind:     hidden_group_size_x
      - .offset:         30
        .size:           2
        .value_kind:     hidden_group_size_y
      - .offset:         32
        .size:           2
        .value_kind:     hidden_group_size_z
      - .offset:         34
        .size:           2
        .value_kind:     hidden_remainder_x
      - .offset:         36
        .size:           2
        .value_kind:     hidden_remainder_y
      - .offset:         38
        .size:           2
        .value_kind:     hidden_remainder_z
      - .offset:         56
        .size:           8
        .value_kind:     hidden_global_offset_x
      - .offset:         64
        .size:           8
        .value_kind:     hidden_global_offset_y
      - .offset:         72
        .size:           8
        .value_kind:     hidden_global_offset_z
      - .offset:         80
        .size:           2
        .value_kind:     hidden_grid_dims
    .group_segment_fixed_size: 18496
    .kernarg_segment_align: 8
    .kernarg_segment_size: 272
    .language:       OpenCL C
    .language_version:
      - 2
      - 0
    .max_flat_workgroup_size: 512
    .name:           _Z6kernelI9histogramILN6hipcub23BlockHistogramAlgorithmE1EEiLj512ELj3ELj512ELj100EEvPKT0_PS4_
    .private_segment_fixed_size: 0
    .sgpr_count:     20
    .sgpr_spill_count: 0
    .symbol:         _Z6kernelI9histogramILN6hipcub23BlockHistogramAlgorithmE1EEiLj512ELj3ELj512ELj100EEvPKT0_PS4_.kd
    .uniform_work_group_size: 1
    .uses_dynamic_stack: false
    .vgpr_count:     44
    .vgpr_spill_count: 0
    .wavefront_size: 32
    .workgroup_processor_mode: 1
  - .args:
      - .address_space:  global
        .offset:         0
        .size:           8
        .value_kind:     global_buffer
      - .address_space:  global
        .offset:         8
        .size:           8
        .value_kind:     global_buffer
      - .offset:         16
        .size:           4
        .value_kind:     hidden_block_count_x
      - .offset:         20
        .size:           4
        .value_kind:     hidden_block_count_y
      - .offset:         24
        .size:           4
        .value_kind:     hidden_block_count_z
      - .offset:         28
        .size:           2
        .value_kind:     hidden_group_size_x
      - .offset:         30
        .size:           2
        .value_kind:     hidden_group_size_y
      - .offset:         32
        .size:           2
        .value_kind:     hidden_group_size_z
      - .offset:         34
        .size:           2
        .value_kind:     hidden_remainder_x
      - .offset:         36
        .size:           2
        .value_kind:     hidden_remainder_y
      - .offset:         38
        .size:           2
        .value_kind:     hidden_remainder_z
      - .offset:         56
        .size:           8
        .value_kind:     hidden_global_offset_x
      - .offset:         64
        .size:           8
        .value_kind:     hidden_global_offset_y
      - .offset:         72
        .size:           8
        .value_kind:     hidden_global_offset_z
      - .offset:         80
        .size:           2
        .value_kind:     hidden_grid_dims
    .group_segment_fixed_size: 18496
    .kernarg_segment_align: 8
    .kernarg_segment_size: 272
    .language:       OpenCL C
    .language_version:
      - 2
      - 0
    .max_flat_workgroup_size: 512
    .name:           _Z6kernelI9histogramILN6hipcub23BlockHistogramAlgorithmE1EEiLj512ELj4ELj512ELj100EEvPKT0_PS4_
    .private_segment_fixed_size: 0
    .sgpr_count:     24
    .sgpr_spill_count: 0
    .symbol:         _Z6kernelI9histogramILN6hipcub23BlockHistogramAlgorithmE1EEiLj512ELj4ELj512ELj100EEvPKT0_PS4_.kd
    .uniform_work_group_size: 1
    .uses_dynamic_stack: false
    .vgpr_count:     52
    .vgpr_spill_count: 0
    .wavefront_size: 32
    .workgroup_processor_mode: 1
  - .args:
      - .address_space:  global
        .offset:         0
        .size:           8
        .value_kind:     global_buffer
      - .address_space:  global
        .offset:         8
        .size:           8
        .value_kind:     global_buffer
      - .offset:         16
        .size:           4
        .value_kind:     hidden_block_count_x
      - .offset:         20
        .size:           4
        .value_kind:     hidden_block_count_y
      - .offset:         24
        .size:           4
        .value_kind:     hidden_block_count_z
      - .offset:         28
        .size:           2
        .value_kind:     hidden_group_size_x
      - .offset:         30
        .size:           2
        .value_kind:     hidden_group_size_y
      - .offset:         32
        .size:           2
        .value_kind:     hidden_group_size_z
      - .offset:         34
        .size:           2
        .value_kind:     hidden_remainder_x
      - .offset:         36
        .size:           2
        .value_kind:     hidden_remainder_y
      - .offset:         38
        .size:           2
        .value_kind:     hidden_remainder_z
      - .offset:         56
        .size:           8
        .value_kind:     hidden_global_offset_x
      - .offset:         64
        .size:           8
        .value_kind:     hidden_global_offset_y
      - .offset:         72
        .size:           8
        .value_kind:     hidden_global_offset_z
      - .offset:         80
        .size:           2
        .value_kind:     hidden_grid_dims
    .group_segment_fixed_size: 18496
    .kernarg_segment_align: 8
    .kernarg_segment_size: 272
    .language:       OpenCL C
    .language_version:
      - 2
      - 0
    .max_flat_workgroup_size: 512
    .name:           _Z6kernelI9histogramILN6hipcub23BlockHistogramAlgorithmE1EEiLj512ELj8ELj512ELj100EEvPKT0_PS4_
    .private_segment_fixed_size: 0
    .sgpr_count:     22
    .sgpr_spill_count: 0
    .symbol:         _Z6kernelI9histogramILN6hipcub23BlockHistogramAlgorithmE1EEiLj512ELj8ELj512ELj100EEvPKT0_PS4_.kd
    .uniform_work_group_size: 1
    .uses_dynamic_stack: false
    .vgpr_count:     69
    .vgpr_spill_count: 0
    .wavefront_size: 32
    .workgroup_processor_mode: 1
  - .args:
      - .address_space:  global
        .offset:         0
        .size:           8
        .value_kind:     global_buffer
      - .address_space:  global
        .offset:         8
        .size:           8
        .value_kind:     global_buffer
      - .offset:         16
        .size:           4
        .value_kind:     hidden_block_count_x
      - .offset:         20
        .size:           4
        .value_kind:     hidden_block_count_y
      - .offset:         24
        .size:           4
        .value_kind:     hidden_block_count_z
      - .offset:         28
        .size:           2
        .value_kind:     hidden_group_size_x
      - .offset:         30
        .size:           2
        .value_kind:     hidden_group_size_y
      - .offset:         32
        .size:           2
        .value_kind:     hidden_group_size_z
      - .offset:         34
        .size:           2
        .value_kind:     hidden_remainder_x
      - .offset:         36
        .size:           2
        .value_kind:     hidden_remainder_y
      - .offset:         38
        .size:           2
        .value_kind:     hidden_remainder_z
      - .offset:         56
        .size:           8
        .value_kind:     hidden_global_offset_x
      - .offset:         64
        .size:           8
        .value_kind:     hidden_global_offset_y
      - .offset:         72
        .size:           8
        .value_kind:     hidden_global_offset_z
      - .offset:         80
        .size:           2
        .value_kind:     hidden_grid_dims
    .group_segment_fixed_size: 34816
    .kernarg_segment_align: 8
    .kernarg_segment_size: 272
    .language:       OpenCL C
    .language_version:
      - 2
      - 0
    .max_flat_workgroup_size: 512
    .name:           _Z6kernelI9histogramILN6hipcub23BlockHistogramAlgorithmE1EEiLj512ELj16ELj512ELj100EEvPKT0_PS4_
    .private_segment_fixed_size: 0
    .sgpr_count:     25
    .sgpr_spill_count: 0
    .symbol:         _Z6kernelI9histogramILN6hipcub23BlockHistogramAlgorithmE1EEiLj512ELj16ELj512ELj100EEvPKT0_PS4_.kd
    .uniform_work_group_size: 1
    .uses_dynamic_stack: false
    .vgpr_count:     106
    .vgpr_spill_count: 0
    .wavefront_size: 32
    .workgroup_processor_mode: 1
  - .args:
      - .address_space:  global
        .offset:         0
        .size:           8
        .value_kind:     global_buffer
      - .address_space:  global
        .offset:         8
        .size:           8
        .value_kind:     global_buffer
      - .offset:         16
        .size:           4
        .value_kind:     hidden_block_count_x
      - .offset:         20
        .size:           4
        .value_kind:     hidden_block_count_y
      - .offset:         24
        .size:           4
        .value_kind:     hidden_block_count_z
      - .offset:         28
        .size:           2
        .value_kind:     hidden_group_size_x
      - .offset:         30
        .size:           2
        .value_kind:     hidden_group_size_y
      - .offset:         32
        .size:           2
        .value_kind:     hidden_group_size_z
      - .offset:         34
        .size:           2
        .value_kind:     hidden_remainder_x
      - .offset:         36
        .size:           2
        .value_kind:     hidden_remainder_y
      - .offset:         38
        .size:           2
        .value_kind:     hidden_remainder_z
      - .offset:         56
        .size:           8
        .value_kind:     hidden_global_offset_x
      - .offset:         64
        .size:           8
        .value_kind:     hidden_global_offset_y
      - .offset:         72
        .size:           8
        .value_kind:     hidden_global_offset_z
      - .offset:         80
        .size:           2
        .value_kind:     hidden_grid_dims
    .group_segment_fixed_size: 10272
    .kernarg_segment_align: 8
    .kernarg_segment_size: 272
    .language:       OpenCL C
    .language_version:
      - 2
      - 0
    .max_flat_workgroup_size: 256
    .name:           _Z6kernelI9histogramILN6hipcub23BlockHistogramAlgorithmE1EEyLj256ELj1ELj256ELj100EEvPKT0_PS4_
    .private_segment_fixed_size: 0
    .sgpr_count:     24
    .sgpr_spill_count: 0
    .symbol:         _Z6kernelI9histogramILN6hipcub23BlockHistogramAlgorithmE1EEyLj256ELj1ELj256ELj100EEvPKT0_PS4_.kd
    .uniform_work_group_size: 1
    .uses_dynamic_stack: false
    .vgpr_count:     34
    .vgpr_spill_count: 0
    .wavefront_size: 32
    .workgroup_processor_mode: 1
  - .args:
      - .address_space:  global
        .offset:         0
        .size:           8
        .value_kind:     global_buffer
      - .address_space:  global
        .offset:         8
        .size:           8
        .value_kind:     global_buffer
      - .offset:         16
        .size:           4
        .value_kind:     hidden_block_count_x
      - .offset:         20
        .size:           4
        .value_kind:     hidden_block_count_y
      - .offset:         24
        .size:           4
        .value_kind:     hidden_block_count_z
      - .offset:         28
        .size:           2
        .value_kind:     hidden_group_size_x
      - .offset:         30
        .size:           2
        .value_kind:     hidden_group_size_y
      - .offset:         32
        .size:           2
        .value_kind:     hidden_group_size_z
      - .offset:         34
        .size:           2
        .value_kind:     hidden_remainder_x
      - .offset:         36
        .size:           2
        .value_kind:     hidden_remainder_y
      - .offset:         38
        .size:           2
        .value_kind:     hidden_remainder_z
      - .offset:         56
        .size:           8
        .value_kind:     hidden_global_offset_x
      - .offset:         64
        .size:           8
        .value_kind:     hidden_global_offset_y
      - .offset:         72
        .size:           8
        .value_kind:     hidden_global_offset_z
      - .offset:         80
        .size:           2
        .value_kind:     hidden_grid_dims
    .group_segment_fixed_size: 10272
    .kernarg_segment_align: 8
    .kernarg_segment_size: 272
    .language:       OpenCL C
    .language_version:
      - 2
      - 0
    .max_flat_workgroup_size: 256
    .name:           _Z6kernelI9histogramILN6hipcub23BlockHistogramAlgorithmE1EEyLj256ELj2ELj256ELj100EEvPKT0_PS4_
    .private_segment_fixed_size: 0
    .sgpr_count:     26
    .sgpr_spill_count: 0
    .symbol:         _Z6kernelI9histogramILN6hipcub23BlockHistogramAlgorithmE1EEyLj256ELj2ELj256ELj100EEvPKT0_PS4_.kd
    .uniform_work_group_size: 1
    .uses_dynamic_stack: false
    .vgpr_count:     43
    .vgpr_spill_count: 0
    .wavefront_size: 32
    .workgroup_processor_mode: 1
  - .args:
      - .address_space:  global
        .offset:         0
        .size:           8
        .value_kind:     global_buffer
      - .address_space:  global
        .offset:         8
        .size:           8
        .value_kind:     global_buffer
      - .offset:         16
        .size:           4
        .value_kind:     hidden_block_count_x
      - .offset:         20
        .size:           4
        .value_kind:     hidden_block_count_y
      - .offset:         24
        .size:           4
        .value_kind:     hidden_block_count_z
      - .offset:         28
        .size:           2
        .value_kind:     hidden_group_size_x
      - .offset:         30
        .size:           2
        .value_kind:     hidden_group_size_y
      - .offset:         32
        .size:           2
        .value_kind:     hidden_group_size_z
      - .offset:         34
        .size:           2
        .value_kind:     hidden_remainder_x
      - .offset:         36
        .size:           2
        .value_kind:     hidden_remainder_y
      - .offset:         38
        .size:           2
        .value_kind:     hidden_remainder_z
      - .offset:         56
        .size:           8
        .value_kind:     hidden_global_offset_x
      - .offset:         64
        .size:           8
        .value_kind:     hidden_global_offset_y
      - .offset:         72
        .size:           8
        .value_kind:     hidden_global_offset_z
      - .offset:         80
        .size:           2
        .value_kind:     hidden_grid_dims
    .group_segment_fixed_size: 10272
    .kernarg_segment_align: 8
    .kernarg_segment_size: 272
    .language:       OpenCL C
    .language_version:
      - 2
      - 0
    .max_flat_workgroup_size: 256
    .name:           _Z6kernelI9histogramILN6hipcub23BlockHistogramAlgorithmE1EEyLj256ELj3ELj256ELj100EEvPKT0_PS4_
    .private_segment_fixed_size: 0
    .sgpr_count:     24
    .sgpr_spill_count: 0
    .symbol:         _Z6kernelI9histogramILN6hipcub23BlockHistogramAlgorithmE1EEyLj256ELj3ELj256ELj100EEvPKT0_PS4_.kd
    .uniform_work_group_size: 1
    .uses_dynamic_stack: false
    .vgpr_count:     49
    .vgpr_spill_count: 0
    .wavefront_size: 32
    .workgroup_processor_mode: 1
  - .args:
      - .address_space:  global
        .offset:         0
        .size:           8
        .value_kind:     global_buffer
      - .address_space:  global
        .offset:         8
        .size:           8
        .value_kind:     global_buffer
      - .offset:         16
        .size:           4
        .value_kind:     hidden_block_count_x
      - .offset:         20
        .size:           4
        .value_kind:     hidden_block_count_y
      - .offset:         24
        .size:           4
        .value_kind:     hidden_block_count_z
      - .offset:         28
        .size:           2
        .value_kind:     hidden_group_size_x
      - .offset:         30
        .size:           2
        .value_kind:     hidden_group_size_y
      - .offset:         32
        .size:           2
        .value_kind:     hidden_group_size_z
      - .offset:         34
        .size:           2
        .value_kind:     hidden_remainder_x
      - .offset:         36
        .size:           2
        .value_kind:     hidden_remainder_y
      - .offset:         38
        .size:           2
        .value_kind:     hidden_remainder_z
      - .offset:         56
        .size:           8
        .value_kind:     hidden_global_offset_x
      - .offset:         64
        .size:           8
        .value_kind:     hidden_global_offset_y
      - .offset:         72
        .size:           8
        .value_kind:     hidden_global_offset_z
      - .offset:         80
        .size:           2
        .value_kind:     hidden_grid_dims
    .group_segment_fixed_size: 10272
    .kernarg_segment_align: 8
    .kernarg_segment_size: 272
    .language:       OpenCL C
    .language_version:
      - 2
      - 0
    .max_flat_workgroup_size: 256
    .name:           _Z6kernelI9histogramILN6hipcub23BlockHistogramAlgorithmE1EEyLj256ELj4ELj256ELj100EEvPKT0_PS4_
    .private_segment_fixed_size: 0
    .sgpr_count:     28
    .sgpr_spill_count: 0
    .symbol:         _Z6kernelI9histogramILN6hipcub23BlockHistogramAlgorithmE1EEyLj256ELj4ELj256ELj100EEvPKT0_PS4_.kd
    .uniform_work_group_size: 1
    .uses_dynamic_stack: false
    .vgpr_count:     58
    .vgpr_spill_count: 0
    .wavefront_size: 32
    .workgroup_processor_mode: 1
  - .args:
      - .address_space:  global
        .offset:         0
        .size:           8
        .value_kind:     global_buffer
      - .address_space:  global
        .offset:         8
        .size:           8
        .value_kind:     global_buffer
      - .offset:         16
        .size:           4
        .value_kind:     hidden_block_count_x
      - .offset:         20
        .size:           4
        .value_kind:     hidden_block_count_y
      - .offset:         24
        .size:           4
        .value_kind:     hidden_block_count_z
      - .offset:         28
        .size:           2
        .value_kind:     hidden_group_size_x
      - .offset:         30
        .size:           2
        .value_kind:     hidden_group_size_y
      - .offset:         32
        .size:           2
        .value_kind:     hidden_group_size_z
      - .offset:         34
        .size:           2
        .value_kind:     hidden_remainder_x
      - .offset:         36
        .size:           2
        .value_kind:     hidden_remainder_y
      - .offset:         38
        .size:           2
        .value_kind:     hidden_remainder_z
      - .offset:         56
        .size:           8
        .value_kind:     hidden_global_offset_x
      - .offset:         64
        .size:           8
        .value_kind:     hidden_global_offset_y
      - .offset:         72
        .size:           8
        .value_kind:     hidden_global_offset_z
      - .offset:         80
        .size:           2
        .value_kind:     hidden_grid_dims
    .group_segment_fixed_size: 18432
    .kernarg_segment_align: 8
    .kernarg_segment_size: 272
    .language:       OpenCL C
    .language_version:
      - 2
      - 0
    .max_flat_workgroup_size: 256
    .name:           _Z6kernelI9histogramILN6hipcub23BlockHistogramAlgorithmE1EEyLj256ELj8ELj256ELj100EEvPKT0_PS4_
    .private_segment_fixed_size: 0
    .sgpr_count:     29
    .sgpr_spill_count: 0
    .symbol:         _Z6kernelI9histogramILN6hipcub23BlockHistogramAlgorithmE1EEyLj256ELj8ELj256ELj100EEvPKT0_PS4_.kd
    .uniform_work_group_size: 1
    .uses_dynamic_stack: false
    .vgpr_count:     74
    .vgpr_spill_count: 0
    .wavefront_size: 32
    .workgroup_processor_mode: 1
  - .args:
      - .address_space:  global
        .offset:         0
        .size:           8
        .value_kind:     global_buffer
      - .address_space:  global
        .offset:         8
        .size:           8
        .value_kind:     global_buffer
      - .offset:         16
        .size:           4
        .value_kind:     hidden_block_count_x
      - .offset:         20
        .size:           4
        .value_kind:     hidden_block_count_y
      - .offset:         24
        .size:           4
        .value_kind:     hidden_block_count_z
      - .offset:         28
        .size:           2
        .value_kind:     hidden_group_size_x
      - .offset:         30
        .size:           2
        .value_kind:     hidden_group_size_y
      - .offset:         32
        .size:           2
        .value_kind:     hidden_group_size_z
      - .offset:         34
        .size:           2
        .value_kind:     hidden_remainder_x
      - .offset:         36
        .size:           2
        .value_kind:     hidden_remainder_y
      - .offset:         38
        .size:           2
        .value_kind:     hidden_remainder_z
      - .offset:         56
        .size:           8
        .value_kind:     hidden_global_offset_x
      - .offset:         64
        .size:           8
        .value_kind:     hidden_global_offset_y
      - .offset:         72
        .size:           8
        .value_kind:     hidden_global_offset_z
      - .offset:         80
        .size:           2
        .value_kind:     hidden_grid_dims
    .group_segment_fixed_size: 34816
    .kernarg_segment_align: 8
    .kernarg_segment_size: 272
    .language:       OpenCL C
    .language_version:
      - 2
      - 0
    .max_flat_workgroup_size: 256
    .name:           _Z6kernelI9histogramILN6hipcub23BlockHistogramAlgorithmE1EEyLj256ELj16ELj256ELj100EEvPKT0_PS4_
    .private_segment_fixed_size: 0
    .sgpr_count:     29
    .sgpr_spill_count: 0
    .symbol:         _Z6kernelI9histogramILN6hipcub23BlockHistogramAlgorithmE1EEyLj256ELj16ELj256ELj100EEvPKT0_PS4_.kd
    .uniform_work_group_size: 1
    .uses_dynamic_stack: false
    .vgpr_count:     125
    .vgpr_spill_count: 0
    .wavefront_size: 32
    .workgroup_processor_mode: 1
  - .args:
      - .address_space:  global
        .offset:         0
        .size:           8
        .value_kind:     global_buffer
      - .address_space:  global
        .offset:         8
        .size:           8
        .value_kind:     global_buffer
      - .offset:         16
        .size:           4
        .value_kind:     hidden_block_count_x
      - .offset:         20
        .size:           4
        .value_kind:     hidden_block_count_y
      - .offset:         24
        .size:           4
        .value_kind:     hidden_block_count_z
      - .offset:         28
        .size:           2
        .value_kind:     hidden_group_size_x
      - .offset:         30
        .size:           2
        .value_kind:     hidden_group_size_y
      - .offset:         32
        .size:           2
        .value_kind:     hidden_group_size_z
      - .offset:         34
        .size:           2
        .value_kind:     hidden_remainder_x
      - .offset:         36
        .size:           2
        .value_kind:     hidden_remainder_y
      - .offset:         38
        .size:           2
        .value_kind:     hidden_remainder_z
      - .offset:         56
        .size:           8
        .value_kind:     hidden_global_offset_x
      - .offset:         64
        .size:           8
        .value_kind:     hidden_global_offset_y
      - .offset:         72
        .size:           8
        .value_kind:     hidden_global_offset_z
      - .offset:         80
        .size:           2
        .value_kind:     hidden_grid_dims
    .group_segment_fixed_size: 12848
    .kernarg_segment_align: 8
    .kernarg_segment_size: 272
    .language:       OpenCL C
    .language_version:
      - 2
      - 0
    .max_flat_workgroup_size: 320
    .name:           _Z6kernelI9histogramILN6hipcub23BlockHistogramAlgorithmE1EEyLj320ELj1ELj320ELj100EEvPKT0_PS4_
    .private_segment_fixed_size: 0
    .sgpr_count:     22
    .sgpr_spill_count: 0
    .symbol:         _Z6kernelI9histogramILN6hipcub23BlockHistogramAlgorithmE1EEyLj320ELj1ELj320ELj100EEvPKT0_PS4_.kd
    .uniform_work_group_size: 1
    .uses_dynamic_stack: false
    .vgpr_count:     35
    .vgpr_spill_count: 0
    .wavefront_size: 32
    .workgroup_processor_mode: 1
  - .args:
      - .address_space:  global
        .offset:         0
        .size:           8
        .value_kind:     global_buffer
      - .address_space:  global
        .offset:         8
        .size:           8
        .value_kind:     global_buffer
      - .offset:         16
        .size:           4
        .value_kind:     hidden_block_count_x
      - .offset:         20
        .size:           4
        .value_kind:     hidden_block_count_y
      - .offset:         24
        .size:           4
        .value_kind:     hidden_block_count_z
      - .offset:         28
        .size:           2
        .value_kind:     hidden_group_size_x
      - .offset:         30
        .size:           2
        .value_kind:     hidden_group_size_y
      - .offset:         32
        .size:           2
        .value_kind:     hidden_group_size_z
      - .offset:         34
        .size:           2
        .value_kind:     hidden_remainder_x
      - .offset:         36
        .size:           2
        .value_kind:     hidden_remainder_y
      - .offset:         38
        .size:           2
        .value_kind:     hidden_remainder_z
      - .offset:         56
        .size:           8
        .value_kind:     hidden_global_offset_x
      - .offset:         64
        .size:           8
        .value_kind:     hidden_global_offset_y
      - .offset:         72
        .size:           8
        .value_kind:     hidden_global_offset_z
      - .offset:         80
        .size:           2
        .value_kind:     hidden_grid_dims
    .group_segment_fixed_size: 12848
    .kernarg_segment_align: 8
    .kernarg_segment_size: 272
    .language:       OpenCL C
    .language_version:
      - 2
      - 0
    .max_flat_workgroup_size: 320
    .name:           _Z6kernelI9histogramILN6hipcub23BlockHistogramAlgorithmE1EEyLj320ELj2ELj320ELj100EEvPKT0_PS4_
    .private_segment_fixed_size: 0
    .sgpr_count:     22
    .sgpr_spill_count: 0
    .symbol:         _Z6kernelI9histogramILN6hipcub23BlockHistogramAlgorithmE1EEyLj320ELj2ELj320ELj100EEvPKT0_PS4_.kd
    .uniform_work_group_size: 1
    .uses_dynamic_stack: false
    .vgpr_count:     43
    .vgpr_spill_count: 0
    .wavefront_size: 32
    .workgroup_processor_mode: 1
  - .args:
      - .address_space:  global
        .offset:         0
        .size:           8
        .value_kind:     global_buffer
      - .address_space:  global
        .offset:         8
        .size:           8
        .value_kind:     global_buffer
      - .offset:         16
        .size:           4
        .value_kind:     hidden_block_count_x
      - .offset:         20
        .size:           4
        .value_kind:     hidden_block_count_y
      - .offset:         24
        .size:           4
        .value_kind:     hidden_block_count_z
      - .offset:         28
        .size:           2
        .value_kind:     hidden_group_size_x
      - .offset:         30
        .size:           2
        .value_kind:     hidden_group_size_y
      - .offset:         32
        .size:           2
        .value_kind:     hidden_group_size_z
      - .offset:         34
        .size:           2
        .value_kind:     hidden_remainder_x
      - .offset:         36
        .size:           2
        .value_kind:     hidden_remainder_y
      - .offset:         38
        .size:           2
        .value_kind:     hidden_remainder_z
      - .offset:         56
        .size:           8
        .value_kind:     hidden_global_offset_x
      - .offset:         64
        .size:           8
        .value_kind:     hidden_global_offset_y
      - .offset:         72
        .size:           8
        .value_kind:     hidden_global_offset_z
      - .offset:         80
        .size:           2
        .value_kind:     hidden_grid_dims
    .group_segment_fixed_size: 12848
    .kernarg_segment_align: 8
    .kernarg_segment_size: 272
    .language:       OpenCL C
    .language_version:
      - 2
      - 0
    .max_flat_workgroup_size: 320
    .name:           _Z6kernelI9histogramILN6hipcub23BlockHistogramAlgorithmE1EEyLj320ELj3ELj320ELj100EEvPKT0_PS4_
    .private_segment_fixed_size: 0
    .sgpr_count:     22
    .sgpr_spill_count: 0
    .symbol:         _Z6kernelI9histogramILN6hipcub23BlockHistogramAlgorithmE1EEyLj320ELj3ELj320ELj100EEvPKT0_PS4_.kd
    .uniform_work_group_size: 1
    .uses_dynamic_stack: false
    .vgpr_count:     49
    .vgpr_spill_count: 0
    .wavefront_size: 32
    .workgroup_processor_mode: 1
  - .args:
      - .address_space:  global
        .offset:         0
        .size:           8
        .value_kind:     global_buffer
      - .address_space:  global
        .offset:         8
        .size:           8
        .value_kind:     global_buffer
      - .offset:         16
        .size:           4
        .value_kind:     hidden_block_count_x
      - .offset:         20
        .size:           4
        .value_kind:     hidden_block_count_y
      - .offset:         24
        .size:           4
        .value_kind:     hidden_block_count_z
      - .offset:         28
        .size:           2
        .value_kind:     hidden_group_size_x
      - .offset:         30
        .size:           2
        .value_kind:     hidden_group_size_y
      - .offset:         32
        .size:           2
        .value_kind:     hidden_group_size_z
      - .offset:         34
        .size:           2
        .value_kind:     hidden_remainder_x
      - .offset:         36
        .size:           2
        .value_kind:     hidden_remainder_y
      - .offset:         38
        .size:           2
        .value_kind:     hidden_remainder_z
      - .offset:         56
        .size:           8
        .value_kind:     hidden_global_offset_x
      - .offset:         64
        .size:           8
        .value_kind:     hidden_global_offset_y
      - .offset:         72
        .size:           8
        .value_kind:     hidden_global_offset_z
      - .offset:         80
        .size:           2
        .value_kind:     hidden_grid_dims
    .group_segment_fixed_size: 13120
    .kernarg_segment_align: 8
    .kernarg_segment_size: 272
    .language:       OpenCL C
    .language_version:
      - 2
      - 0
    .max_flat_workgroup_size: 320
    .name:           _Z6kernelI9histogramILN6hipcub23BlockHistogramAlgorithmE1EEyLj320ELj4ELj320ELj100EEvPKT0_PS4_
    .private_segment_fixed_size: 0
    .sgpr_count:     24
    .sgpr_spill_count: 0
    .symbol:         _Z6kernelI9histogramILN6hipcub23BlockHistogramAlgorithmE1EEyLj320ELj4ELj320ELj100EEvPKT0_PS4_.kd
    .uniform_work_group_size: 1
    .uses_dynamic_stack: false
    .vgpr_count:     61
    .vgpr_spill_count: 0
    .wavefront_size: 32
    .workgroup_processor_mode: 1
  - .args:
      - .address_space:  global
        .offset:         0
        .size:           8
        .value_kind:     global_buffer
      - .address_space:  global
        .offset:         8
        .size:           8
        .value_kind:     global_buffer
      - .offset:         16
        .size:           4
        .value_kind:     hidden_block_count_x
      - .offset:         20
        .size:           4
        .value_kind:     hidden_block_count_y
      - .offset:         24
        .size:           4
        .value_kind:     hidden_block_count_z
      - .offset:         28
        .size:           2
        .value_kind:     hidden_group_size_x
      - .offset:         30
        .size:           2
        .value_kind:     hidden_group_size_y
      - .offset:         32
        .size:           2
        .value_kind:     hidden_group_size_z
      - .offset:         34
        .size:           2
        .value_kind:     hidden_remainder_x
      - .offset:         36
        .size:           2
        .value_kind:     hidden_remainder_y
      - .offset:         38
        .size:           2
        .value_kind:     hidden_remainder_z
      - .offset:         56
        .size:           8
        .value_kind:     hidden_global_offset_x
      - .offset:         64
        .size:           8
        .value_kind:     hidden_global_offset_y
      - .offset:         72
        .size:           8
        .value_kind:     hidden_global_offset_z
      - .offset:         80
        .size:           2
        .value_kind:     hidden_grid_dims
    .group_segment_fixed_size: 23680
    .kernarg_segment_align: 8
    .kernarg_segment_size: 272
    .language:       OpenCL C
    .language_version:
      - 2
      - 0
    .max_flat_workgroup_size: 320
    .name:           _Z6kernelI9histogramILN6hipcub23BlockHistogramAlgorithmE1EEyLj320ELj8ELj320ELj100EEvPKT0_PS4_
    .private_segment_fixed_size: 0
    .sgpr_count:     25
    .sgpr_spill_count: 0
    .symbol:         _Z6kernelI9histogramILN6hipcub23BlockHistogramAlgorithmE1EEyLj320ELj8ELj320ELj100EEvPKT0_PS4_.kd
    .uniform_work_group_size: 1
    .uses_dynamic_stack: false
    .vgpr_count:     81
    .vgpr_spill_count: 0
    .wavefront_size: 32
    .workgroup_processor_mode: 1
  - .args:
      - .address_space:  global
        .offset:         0
        .size:           8
        .value_kind:     global_buffer
      - .address_space:  global
        .offset:         8
        .size:           8
        .value_kind:     global_buffer
      - .offset:         16
        .size:           4
        .value_kind:     hidden_block_count_x
      - .offset:         20
        .size:           4
        .value_kind:     hidden_block_count_y
      - .offset:         24
        .size:           4
        .value_kind:     hidden_block_count_z
      - .offset:         28
        .size:           2
        .value_kind:     hidden_group_size_x
      - .offset:         30
        .size:           2
        .value_kind:     hidden_group_size_y
      - .offset:         32
        .size:           2
        .value_kind:     hidden_group_size_z
      - .offset:         34
        .size:           2
        .value_kind:     hidden_remainder_x
      - .offset:         36
        .size:           2
        .value_kind:     hidden_remainder_y
      - .offset:         38
        .size:           2
        .value_kind:     hidden_remainder_z
      - .offset:         56
        .size:           8
        .value_kind:     hidden_global_offset_x
      - .offset:         64
        .size:           8
        .value_kind:     hidden_global_offset_y
      - .offset:         72
        .size:           8
        .value_kind:     hidden_global_offset_z
      - .offset:         80
        .size:           2
        .value_kind:     hidden_grid_dims
    .group_segment_fixed_size: 44800
    .kernarg_segment_align: 8
    .kernarg_segment_size: 272
    .language:       OpenCL C
    .language_version:
      - 2
      - 0
    .max_flat_workgroup_size: 320
    .name:           _Z6kernelI9histogramILN6hipcub23BlockHistogramAlgorithmE1EEyLj320ELj16ELj320ELj100EEvPKT0_PS4_
    .private_segment_fixed_size: 0
    .sgpr_count:     25
    .sgpr_spill_count: 0
    .symbol:         _Z6kernelI9histogramILN6hipcub23BlockHistogramAlgorithmE1EEyLj320ELj16ELj320ELj100EEvPKT0_PS4_.kd
    .uniform_work_group_size: 1
    .uses_dynamic_stack: false
    .vgpr_count:     139
    .vgpr_spill_count: 0
    .wavefront_size: 32
    .workgroup_processor_mode: 1
amdhsa.target:   amdgcn-amd-amdhsa--gfx1100
amdhsa.version:
  - 1
  - 2
...

	.end_amdgpu_metadata
